;; amdgpu-corpus repo=ROCm/rocFFT kind=compiled arch=gfx1030 opt=O3
	.text
	.amdgcn_target "amdgcn-amd-amdhsa--gfx1030"
	.amdhsa_code_object_version 6
	.protected	fft_rtc_back_len168_factors_3_7_8_wgs_192_tpt_8_dim2_sp_ip_CI_sbcc_twdbase8_2step_dirReg ; -- Begin function fft_rtc_back_len168_factors_3_7_8_wgs_192_tpt_8_dim2_sp_ip_CI_sbcc_twdbase8_2step_dirReg
	.globl	fft_rtc_back_len168_factors_3_7_8_wgs_192_tpt_8_dim2_sp_ip_CI_sbcc_twdbase8_2step_dirReg
	.p2align	8
	.type	fft_rtc_back_len168_factors_3_7_8_wgs_192_tpt_8_dim2_sp_ip_CI_sbcc_twdbase8_2step_dirReg,@function
fft_rtc_back_len168_factors_3_7_8_wgs_192_tpt_8_dim2_sp_ip_CI_sbcc_twdbase8_2step_dirReg: ; @fft_rtc_back_len168_factors_3_7_8_wgs_192_tpt_8_dim2_sp_ip_CI_sbcc_twdbase8_2step_dirReg
; %bb.0:
	s_load_dwordx4 s[0:3], s[4:5], 0x10
	s_mov_b64 s[20:21], 0
	s_waitcnt lgkmcnt(0)
	s_load_dwordx2 s[14:15], s[0:1], 0x8
	s_waitcnt lgkmcnt(0)
	s_add_u32 s0, s14, -1
	s_addc_u32 s1, s15, -1
	s_add_u32 s7, 0, 0xaaaa0000
	s_addc_u32 s8, 0, 42
	s_mul_hi_u32 s10, s7, 0xffffffe8
	s_add_i32 s8, s8, 0xaaaaa80
	s_sub_i32 s10, s10, s7
	s_mul_i32 s12, s8, 0xffffffe8
	s_mul_i32 s9, s7, 0xffffffe8
	s_add_i32 s10, s10, s12
	s_mul_hi_u32 s11, s7, s9
	s_mul_i32 s16, s7, s10
	s_mul_hi_u32 s12, s7, s10
	s_mul_hi_u32 s13, s8, s9
	s_mul_i32 s9, s8, s9
	s_add_u32 s11, s11, s16
	s_addc_u32 s12, 0, s12
	s_mul_hi_u32 s17, s8, s10
	s_add_u32 s9, s11, s9
	s_mul_i32 s10, s8, s10
	s_addc_u32 s9, s12, s13
	s_addc_u32 s11, s17, 0
	s_add_u32 s9, s9, s10
	v_add_co_u32 v1, s7, s7, s9
	s_addc_u32 s9, 0, s11
	s_cmp_lg_u32 s7, 0
	s_addc_u32 s7, s8, s9
	v_readfirstlane_b32 s8, v1
	s_mul_i32 s10, s0, s7
	s_mul_hi_u32 s9, s0, s7
	s_mul_hi_u32 s11, s1, s7
	s_mul_i32 s7, s1, s7
	s_mul_hi_u32 s12, s0, s8
	s_mul_hi_u32 s13, s1, s8
	s_mul_i32 s8, s1, s8
	s_add_u32 s10, s12, s10
	s_addc_u32 s9, 0, s9
	s_add_u32 s8, s10, s8
	s_addc_u32 s8, s9, s13
	s_addc_u32 s9, s11, 0
	s_add_u32 s8, s8, s7
	s_addc_u32 s9, 0, s9
	s_mul_i32 s10, s8, 24
	s_add_u32 s7, s8, 1
	v_sub_co_u32 v1, s0, s0, s10
	s_mul_hi_u32 s10, s8, 24
	s_addc_u32 s11, s9, 0
	s_mul_i32 s12, s9, 24
	v_sub_co_u32 v2, s13, v1, 24
	s_add_u32 s16, s8, 2
	s_addc_u32 s17, s9, 0
	s_add_i32 s10, s10, s12
	s_cmp_lg_u32 s0, 0
	v_readfirstlane_b32 s0, v2
	s_subb_u32 s1, s1, s10
	s_cmp_lg_u32 s13, 0
	s_load_dwordx2 s[12:13], s[2:3], 0x0
	s_subb_u32 s10, s1, 0
	s_cmp_gt_u32 s0, 23
	s_cselect_b32 s0, -1, 0
	s_cmp_eq_u32 s10, 0
	v_readfirstlane_b32 s10, v1
	s_cselect_b32 s0, s0, -1
	s_cmp_lg_u32 s0, 0
	s_cselect_b32 s0, s16, s7
	s_cselect_b32 s11, s17, s11
	s_cmp_gt_u32 s10, 23
	s_load_dwordx2 s[16:17], s[4:5], 0x50
	s_cselect_b32 s7, -1, 0
	s_cmp_eq_u32 s1, 0
	s_cselect_b32 s1, s7, -1
	s_mov_b32 s7, 0
	s_cmp_lg_u32 s1, 0
	s_cselect_b32 s0, s0, s8
	s_cselect_b32 s1, s11, s9
	s_add_u32 s0, s0, 1
	s_addc_u32 s1, s1, 0
	v_cmp_lt_u64_e64 s8, s[6:7], s[0:1]
	s_mov_b32 s7, -1
	s_and_b32 vcc_lo, exec_lo, s8
	s_cbranch_vccnz .LBB0_2
; %bb.1:
	v_cvt_f32_u32_e32 v1, s0
	s_sub_i32 s9, 0, s0
	v_rcp_iflag_f32_e32 v1, v1
	v_mul_f32_e32 v1, 0x4f7ffffe, v1
	v_cvt_u32_f32_e32 v1, v1
	v_readfirstlane_b32 s8, v1
	s_mul_i32 s9, s9, s8
	s_mul_hi_u32 s9, s8, s9
	s_add_i32 s8, s8, s9
	s_mul_hi_u32 s8, s6, s8
	s_mul_i32 s9, s8, s0
	s_add_i32 s10, s8, 1
	s_sub_i32 s9, s6, s9
	s_sub_i32 s11, s9, s0
	s_cmp_ge_u32 s9, s0
	s_cselect_b32 s8, s10, s8
	s_cselect_b32 s9, s11, s9
	s_add_i32 s10, s8, 1
	s_cmp_ge_u32 s9, s0
	s_cselect_b32 s20, s10, s8
.LBB0_2:
	s_load_dwordx4 s[8:11], s[2:3], 0x8
	v_mul_u32_u24_e32 v1, 0xaab, v0
	s_mul_i32 s1, s20, s1
	s_mul_hi_u32 s2, s20, s0
	s_mul_i32 s0, s20, s0
	s_add_i32 s2, s2, s1
	v_lshrrev_b32_e32 v117, 16, v1
	s_sub_u32 s0, s6, s0
	s_subb_u32 s1, 0, s2
	s_load_dwordx2 s[18:19], s[4:5], 0x0
	s_mul_hi_u32 s2, s0, 24
	v_mul_lo_u16 v1, v117, 24
	s_mul_i32 s1, s1, 24
	s_mul_i32 s6, s0, 24
	s_add_i32 s21, s2, s1
	v_add_nc_u32_e32 v44, 8, v117
	v_sub_nc_u16 v43, v0, v1
	v_or_b32_e32 v118, 16, v117
	v_add_nc_u32_e32 v45, 24, v117
	v_or_b32_e32 v46, 48, v117
	s_waitcnt lgkmcnt(0)
	s_mul_i32 s1, s6, s9
	s_mul_hi_u32 s2, s6, s8
	s_mul_i32 s0, s21, s8
	s_mul_i32 s11, s11, s20
	s_mul_hi_u32 s22, s10, s20
	s_add_i32 s1, s2, s1
	s_mul_i32 s3, s6, s8
	s_mul_i32 s2, s10, s20
	s_add_i32 s1, s1, s0
	s_add_i32 s22, s22, s11
	s_add_u32 s2, s2, s3
	s_addc_u32 s3, s22, s1
	v_and_b32_e32 v119, 0xffff, v43
	s_add_u32 s0, s6, 24
	s_addc_u32 s1, s21, 0
	v_cmp_gt_u64_e64 s10, s[0:1], s[14:15]
	v_add_co_u32 v55, s6, s6, v119
	v_cmp_le_u64_e64 s1, s[0:1], s[14:15]
	v_add_co_ci_u32_e64 v56, null, s21, 0, s6
	s_and_b32 vcc_lo, exec_lo, s10
	s_cbranch_vccnz .LBB0_4
; %bb.3:
	v_mad_u64_u32 v[1:2], null, s8, v119, 0
	v_mad_u64_u32 v[3:4], null, s12, v117, 0
	v_add_nc_u32_e32 v12, 56, v117
	v_or_b32_e32 v14, 0x70, v117
	v_add_nc_u32_e32 v120, 8, v117
	s_lshl_b64 s[6:7], s[2:3], 3
	v_add_nc_u32_e32 v21, 0x78, v117
	s_add_u32 s0, s16, s6
	v_mad_u64_u32 v[5:6], null, s9, v119, v[2:3]
	v_mad_u64_u32 v[6:7], null, s12, v12, 0
	;; [unrolled: 1-line block ×4, first 2 shown]
	v_mov_b32_e32 v2, v5
	v_mad_u64_u32 v[4:5], null, s13, v117, v[4:5]
	v_mov_b32_e32 v5, v7
	s_addc_u32 s6, s17, s7
	v_lshlrev_b64 v[1:2], 3, v[1:2]
	v_or_b32_e32 v121, 16, v117
	v_mad_u64_u32 v[15:16], null, s12, v21, 0
	v_mad_u64_u32 v[12:13], null, s13, v12, v[5:6]
	v_add_co_u32 v57, vcc_lo, s0, v1
	v_add_co_ci_u32_e32 v58, vcc_lo, s6, v2, vcc_lo
	v_lshlrev_b64 v[1:2], 3, v[3:4]
	v_mad_u64_u32 v[4:5], null, s13, v14, v[9:10]
	v_mov_b32_e32 v3, v11
	v_mov_b32_e32 v7, v12
	v_mad_u64_u32 v[17:18], null, s12, v121, 0
	v_add_co_u32 v1, vcc_lo, v57, v1
	v_mad_u64_u32 v[11:12], null, s13, v120, v[3:4]
	v_or_b32_e32 v12, 64, v117
	v_mov_b32_e32 v9, v4
	v_lshlrev_b64 v[5:6], 3, v[6:7]
	v_add_co_ci_u32_e32 v2, vcc_lo, v58, v2, vcc_lo
	v_mad_u64_u32 v[13:14], null, s12, v12, 0
	v_lshlrev_b64 v[3:4], 3, v[8:9]
	v_add_co_u32 v5, vcc_lo, v57, v5
	v_lshlrev_b64 v[7:8], 3, v[10:11]
	v_add_co_ci_u32_e32 v6, vcc_lo, v58, v6, vcc_lo
	v_mov_b32_e32 v9, v14
	v_add_co_u32 v19, vcc_lo, v57, v3
	v_add_co_ci_u32_e32 v20, vcc_lo, v58, v4, vcc_lo
	v_mad_u64_u32 v[9:10], null, s13, v12, v[9:10]
	v_mov_b32_e32 v3, v16
	v_mov_b32_e32 v4, v18
	v_add_co_u32 v7, vcc_lo, v57, v7
	v_add_co_ci_u32_e32 v8, vcc_lo, v58, v8, vcc_lo
	v_mad_u64_u32 v[21:22], null, s13, v21, v[3:4]
	v_mov_b32_e32 v14, v9
	v_mad_u64_u32 v[22:23], null, s13, v121, v[4:5]
	s_clause 0x3
	global_load_dwordx2 v[3:4], v[1:2], off
	global_load_dwordx2 v[11:12], v[5:6], off
	;; [unrolled: 1-line block ×4, first 2 shown]
	v_add_nc_u32_e32 v23, 0x48, v117
	v_or_b32_e32 v19, 0x80, v117
	v_mov_b32_e32 v16, v21
	v_add_nc_u32_e32 v47, 24, v117
	v_lshlrev_b64 v[5:6], 3, v[13:14]
	v_mad_u64_u32 v[7:8], null, s12, v23, 0
	v_mov_b32_e32 v18, v22
	v_lshlrev_b64 v[13:14], 3, v[15:16]
	v_mad_u64_u32 v[25:26], null, s12, v47, 0
	v_add_co_u32 v5, vcc_lo, v57, v5
	v_lshlrev_b64 v[15:16], 3, v[17:18]
	v_add_co_ci_u32_e32 v6, vcc_lo, v58, v6, vcc_lo
	v_add_co_u32 v13, vcc_lo, v57, v13
	v_add_co_ci_u32_e32 v14, vcc_lo, v58, v14, vcc_lo
	v_add_co_u32 v15, vcc_lo, v57, v15
	v_add_co_ci_u32_e32 v16, vcc_lo, v58, v16, vcc_lo
	v_or_b32_e32 v29, 0x50, v117
	v_add_nc_u32_e32 v30, 0x88, v117
	v_or_b32_e32 v33, 32, v117
	v_or_b32_e32 v39, 0x90, v117
	;; [unrolled: 1-line block ×3, first 2 shown]
	v_add_nc_u32_e32 v59, 0x68, v117
	v_mad_u64_u32 v[27:28], null, s12, v30, 0
	v_mad_u64_u32 v[31:32], null, s12, v33, 0
	;; [unrolled: 1-line block ×4, first 2 shown]
	v_or_b32_e32 v60, 0xa0, v117
	s_waitcnt vmcnt(1)
	v_mad_u64_u32 v[17:18], null, s13, v23, v[8:9]
	v_mad_u64_u32 v[23:24], null, s12, v19, 0
	v_mov_b32_e32 v18, v26
	v_mov_b32_e32 v8, v17
	;; [unrolled: 1-line block ×3, first 2 shown]
	v_lshlrev_b64 v[7:8], 3, v[7:8]
	v_mad_u64_u32 v[19:20], null, s13, v19, v[17:18]
	v_add_co_u32 v7, vcc_lo, v57, v7
	v_add_co_ci_u32_e32 v8, vcc_lo, v58, v8, vcc_lo
	v_mad_u64_u32 v[17:18], null, s13, v47, v[18:19]
	v_mov_b32_e32 v24, v19
	s_clause 0x3
	global_load_dwordx2 v[21:22], v[5:6], off
	global_load_dwordx2 v[19:20], v[13:14], off
	;; [unrolled: 1-line block ×4, first 2 shown]
	v_mov_b32_e32 v14, v28
	v_lshlrev_b64 v[7:8], 3, v[23:24]
	v_mov_b32_e32 v26, v17
	v_mad_u64_u32 v[17:18], null, s12, v29, 0
	v_lshlrev_b64 v[23:24], 3, v[25:26]
	v_add_co_u32 v7, vcc_lo, v57, v7
	v_add_co_ci_u32_e32 v8, vcc_lo, v58, v8, vcc_lo
	v_mov_b32_e32 v13, v18
	v_mad_u64_u32 v[25:26], null, s13, v29, v[13:14]
	v_add_nc_u32_e32 v29, 0x58, v117
	v_mov_b32_e32 v18, v25
	v_lshlrev_b64 v[17:18], 3, v[17:18]
	s_waitcnt vmcnt(0)
	v_mad_u64_u32 v[13:14], null, s13, v30, v[14:15]
	v_mov_b32_e32 v28, v13
	v_add_co_u32 v13, vcc_lo, v57, v23
	v_add_co_ci_u32_e32 v14, vcc_lo, v58, v24, vcc_lo
	v_lshlrev_b64 v[24:25], 3, v[27:28]
	v_mov_b32_e32 v23, v32
	v_add_co_u32 v17, vcc_lo, v57, v17
	v_add_co_ci_u32_e32 v18, vcc_lo, v58, v18, vcc_lo
	v_mad_u64_u32 v[26:27], null, s13, v33, v[23:24]
	v_mad_u64_u32 v[33:34], null, s12, v29, 0
	v_add_co_u32 v23, vcc_lo, v57, v24
	v_add_co_ci_u32_e32 v24, vcc_lo, v58, v25, vcc_lo
	v_mov_b32_e32 v32, v26
	v_mov_b32_e32 v25, v34
	v_mad_u64_u32 v[37:38], null, s13, v29, v[25:26]
	s_clause 0x3
	global_load_dwordx2 v[29:30], v[7:8], off
	global_load_dwordx2 v[7:8], v[13:14], off
	global_load_dwordx2 v[27:28], v[17:18], off
	global_load_dwordx2 v[25:26], v[23:24], off
	v_add_nc_u32_e32 v38, 40, v117
	v_mov_b32_e32 v17, v36
	v_lshlrev_b64 v[13:14], 3, v[31:32]
	v_mad_u64_u32 v[23:24], null, s12, v38, 0
	v_mad_u64_u32 v[17:18], null, s13, v39, v[17:18]
	v_mov_b32_e32 v34, v37
	v_or_b32_e32 v37, 0x60, v117
	v_add_co_u32 v13, vcc_lo, v57, v13
	v_mov_b32_e32 v18, v24
	v_lshlrev_b64 v[31:32], 3, v[33:34]
	v_mov_b32_e32 v36, v17
	v_mad_u64_u32 v[33:34], null, s12, v37, 0
	v_mad_u64_u32 v[17:18], null, s13, v38, v[18:19]
	v_add_nc_u32_e32 v38, 0x98, v117
	v_lshlrev_b64 v[35:36], 3, v[35:36]
	v_add_co_ci_u32_e32 v14, vcc_lo, v58, v14, vcc_lo
	v_add_co_u32 v31, vcc_lo, v57, v31
	v_mad_u64_u32 v[39:40], null, s12, v38, 0
	v_mov_b32_e32 v24, v17
	v_mov_b32_e32 v17, v34
	v_add_co_ci_u32_e32 v32, vcc_lo, v58, v32, vcc_lo
	v_add_co_u32 v35, vcc_lo, v57, v35
	v_mad_u64_u32 v[17:18], null, s13, v37, v[17:18]
	v_mov_b32_e32 v18, v40
	v_lshlrev_b64 v[23:24], 3, v[23:24]
	v_add_co_ci_u32_e32 v36, vcc_lo, v58, v36, vcc_lo
	v_mad_u64_u32 v[49:50], null, s13, v38, v[18:19]
	v_mov_b32_e32 v34, v17
	v_mov_b32_e32 v17, v42
	v_mad_u64_u32 v[50:51], null, s12, v59, 0
	v_add_co_u32 v23, vcc_lo, v57, v23
	v_mad_u64_u32 v[52:53], null, s13, v48, v[17:18]
	v_add_co_ci_u32_e32 v24, vcc_lo, v58, v24, vcc_lo
	v_mad_u64_u32 v[53:54], null, s12, v60, 0
	s_clause 0x3
	global_load_dwordx2 v[17:18], v[13:14], off
	global_load_dwordx2 v[37:38], v[31:32], off
	;; [unrolled: 1-line block ×4, first 2 shown]
	v_mov_b32_e32 v23, v51
	v_mov_b32_e32 v40, v49
	v_lshlrev_b64 v[31:32], 3, v[33:34]
	v_mov_b32_e32 v42, v52
	v_mad_u64_u32 v[23:24], null, s13, v59, v[23:24]
	v_mov_b32_e32 v24, v54
	v_lshlrev_b64 v[33:34], 3, v[39:40]
	v_add_co_u32 v31, vcc_lo, v57, v31
	v_add_co_ci_u32_e32 v32, vcc_lo, v58, v32, vcc_lo
	v_mov_b32_e32 v51, v23
	v_add_co_u32 v23, vcc_lo, v57, v33
	s_waitcnt vmcnt(4)
	v_mad_u64_u32 v[39:40], null, s13, v60, v[24:25]
	v_lshlrev_b64 v[40:41], 3, v[41:42]
	v_add_co_ci_u32_e32 v24, vcc_lo, v58, v34, vcc_lo
	v_lshlrev_b64 v[33:34], 3, v[50:51]
	v_mov_b32_e32 v54, v39
	v_add_co_u32 v49, vcc_lo, v57, v40
	v_add_co_ci_u32_e32 v50, vcc_lo, v58, v41, vcc_lo
	v_lshlrev_b64 v[39:40], 3, v[53:54]
	v_add_co_u32 v33, vcc_lo, v57, v33
	v_add_co_ci_u32_e32 v34, vcc_lo, v58, v34, vcc_lo
	v_add_co_u32 v51, vcc_lo, v57, v39
	v_add_co_ci_u32_e32 v52, vcc_lo, v58, v40, vcc_lo
	s_clause 0x4
	global_load_dwordx2 v[41:42], v[31:32], off
	global_load_dwordx2 v[39:40], v[23:24], off
	;; [unrolled: 1-line block ×5, first 2 shown]
	s_cbranch_execz .LBB0_5
	s_branch .LBB0_10
.LBB0_4:
                                        ; implicit-def: $vgpr33
                                        ; implicit-def: $vgpr31
                                        ; implicit-def: $vgpr23
                                        ; implicit-def: $vgpr39
                                        ; implicit-def: $vgpr41
                                        ; implicit-def: $vgpr13
                                        ; implicit-def: $vgpr35
                                        ; implicit-def: $vgpr37
                                        ; implicit-def: $vgpr17
                                        ; implicit-def: $vgpr25
                                        ; implicit-def: $vgpr27
                                        ; implicit-def: $vgpr7
                                        ; implicit-def: $vgpr29
                                        ; implicit-def: $vgpr15
                                        ; implicit-def: $vgpr5
                                        ; implicit-def: $vgpr19
                                        ; implicit-def: $vgpr21
                                        ; implicit-def: $vgpr1
                                        ; implicit-def: $vgpr9
                                        ; implicit-def: $vgpr11
                                        ; implicit-def: $vgpr3
                                        ; implicit-def: $vgpr120
                                        ; implicit-def: $vgpr121
                                        ; implicit-def: $vgpr47
                                        ; implicit-def: $vgpr48
	s_andn2_b32 vcc_lo, exec_lo, s7
	s_cbranch_vccnz .LBB0_10
.LBB0_5:
	s_mov_b32 s0, exec_lo
                                        ; implicit-def: $vgpr120
                                        ; implicit-def: $vgpr121
                                        ; implicit-def: $vgpr47
                                        ; implicit-def: $vgpr48
	v_cmpx_le_u64_e64 s[14:15], v[55:56]
	s_xor_b32 s0, exec_lo, s0
; %bb.6:
	v_add_nc_u32_e32 v120, 8, v117
	v_or_b32_e32 v121, 16, v117
	v_add_nc_u32_e32 v47, 24, v117
	v_or_b32_e32 v48, 48, v117
                                        ; implicit-def: $vgpr44
                                        ; implicit-def: $vgpr45
                                        ; implicit-def: $vgpr46
; %bb.7:
	s_or_saveexec_b32 s0, s0
                                        ; implicit-def: $vgpr33
                                        ; implicit-def: $vgpr31
                                        ; implicit-def: $vgpr23
                                        ; implicit-def: $vgpr39
                                        ; implicit-def: $vgpr41
                                        ; implicit-def: $vgpr13
                                        ; implicit-def: $vgpr35
                                        ; implicit-def: $vgpr37
                                        ; implicit-def: $vgpr17
                                        ; implicit-def: $vgpr25
                                        ; implicit-def: $vgpr27
                                        ; implicit-def: $vgpr7
                                        ; implicit-def: $vgpr29
                                        ; implicit-def: $vgpr15
                                        ; implicit-def: $vgpr5
                                        ; implicit-def: $vgpr19
                                        ; implicit-def: $vgpr21
                                        ; implicit-def: $vgpr1
                                        ; implicit-def: $vgpr9
                                        ; implicit-def: $vgpr11
                                        ; implicit-def: $vgpr3
	s_xor_b32 exec_lo, exec_lo, s0
	s_cbranch_execz .LBB0_9
; %bb.8:
	v_mad_u64_u32 v[1:2], null, s8, v119, 0
	v_mad_u64_u32 v[3:4], null, s12, v117, 0
	s_waitcnt vmcnt(5)
	v_add_nc_u32_e32 v13, 56, v117
	v_or_b32_e32 v14, 0x70, v117
	s_lshl_b64 s[6:7], s[2:3], 3
	v_or_b32_e32 v15, 64, v117
	s_add_u32 s6, s16, s6
	s_addc_u32 s7, s17, s7
	v_mad_u64_u32 v[5:6], null, s9, v119, v[2:3]
	v_mad_u64_u32 v[6:7], null, s12, v13, 0
	;; [unrolled: 1-line block ×3, first 2 shown]
	v_add_nc_u32_e32 v19, 0x78, v117
	v_mad_u64_u32 v[17:18], null, s12, v118, 0
	v_mad_u64_u32 v[8:9], null, s13, v117, v[4:5]
	v_mov_b32_e32 v2, v5
	v_mov_b32_e32 v5, v7
	v_mad_u64_u32 v[9:10], null, s12, v44, 0
	v_add_nc_u32_e32 v22, 0x48, v117
	v_lshlrev_b64 v[1:2], 3, v[1:2]
	v_mov_b32_e32 v4, v8
	v_mad_u64_u32 v[7:8], null, s13, v13, v[5:6]
	v_mov_b32_e32 v5, v12
	v_or_b32_e32 v25, 0x80, v117
	v_lshlrev_b64 v[3:4], 3, v[3:4]
	v_add_co_u32 v53, vcc_lo, s6, v1
	v_add_co_ci_u32_e32 v54, vcc_lo, s7, v2, vcc_lo
	v_mad_u64_u32 v[1:2], null, s13, v14, v[5:6]
	v_mov_b32_e32 v2, v10
	v_add_co_u32 v3, vcc_lo, v53, v3
	v_mad_u64_u32 v[13:14], null, s12, v15, 0
	v_lshlrev_b64 v[5:6], 3, v[6:7]
	v_mad_u64_u32 v[7:8], null, s13, v44, v[2:3]
	v_mov_b32_e32 v12, v1
	v_add_co_ci_u32_e32 v4, vcc_lo, v54, v4, vcc_lo
	v_mov_b32_e32 v1, v14
	v_add_co_u32 v5, vcc_lo, v53, v5
	v_mov_b32_e32 v10, v7
	v_lshlrev_b64 v[11:12], 3, v[11:12]
	v_mad_u64_u32 v[1:2], null, s13, v15, v[1:2]
	v_mad_u64_u32 v[15:16], null, s12, v19, 0
	v_lshlrev_b64 v[9:10], 3, v[9:10]
	v_add_co_ci_u32_e32 v6, vcc_lo, v54, v6, vcc_lo
	v_add_co_u32 v7, vcc_lo, v53, v11
	v_add_co_ci_u32_e32 v8, vcc_lo, v54, v12, vcc_lo
	v_mov_b32_e32 v14, v1
	v_add_co_u32 v1, vcc_lo, v53, v9
	v_add_co_ci_u32_e32 v2, vcc_lo, v54, v10, vcc_lo
	v_mov_b32_e32 v9, v16
	v_mov_b32_e32 v10, v18
	v_lshlrev_b64 v[13:14], 3, v[13:14]
	s_waitcnt vmcnt(2)
	v_mad_u64_u32 v[23:24], null, s12, v45, 0
	v_or_b32_e32 v29, 0x50, v117
	v_mad_u64_u32 v[18:19], null, s13, v19, v[9:10]
	v_mad_u64_u32 v[19:20], null, s13, v118, v[10:11]
	s_clause 0x3
	global_load_dwordx2 v[3:4], v[3:4], off
	global_load_dwordx2 v[11:12], v[5:6], off
	;; [unrolled: 1-line block ×4, first 2 shown]
	v_mad_u64_u32 v[20:21], null, s12, v22, 0
	v_add_co_u32 v5, vcc_lo, v53, v13
	v_mov_b32_e32 v16, v18
	v_mov_b32_e32 v18, v19
	v_add_co_ci_u32_e32 v6, vcc_lo, v54, v14, vcc_lo
	v_mov_b32_e32 v7, v21
	v_lshlrev_b64 v[13:14], 3, v[15:16]
	v_lshlrev_b64 v[15:16], 3, v[17:18]
	v_mad_u64_u32 v[17:18], null, s12, v25, 0
	v_mad_u64_u32 v[7:8], null, s13, v22, v[7:8]
	v_mov_b32_e32 v8, v24
	v_add_co_u32 v13, vcc_lo, v53, v13
	v_add_nc_u32_e32 v30, 0x88, v117
	v_add_co_ci_u32_e32 v14, vcc_lo, v54, v14, vcc_lo
	v_mov_b32_e32 v21, v7
	v_mov_b32_e32 v7, v18
	v_add_co_u32 v15, vcc_lo, v53, v15
	v_add_co_ci_u32_e32 v16, vcc_lo, v54, v16, vcc_lo
	v_lshlrev_b64 v[18:19], 3, v[20:21]
	v_mad_u64_u32 v[20:21], null, s13, v25, v[7:8]
	v_mad_u64_u32 v[27:28], null, s12, v30, 0
	s_waitcnt vmcnt(4)
	v_or_b32_e32 v33, 32, v117
	v_add_co_u32 v25, vcc_lo, v53, v18
	v_add_co_ci_u32_e32 v26, vcc_lo, v54, v19, vcc_lo
	v_mov_b32_e32 v18, v20
	s_clause 0x3
	global_load_dwordx2 v[21:22], v[5:6], off
	global_load_dwordx2 v[19:20], v[13:14], off
	;; [unrolled: 1-line block ×4, first 2 shown]
	v_mad_u64_u32 v[31:32], null, s12, v33, 0
	v_or_b32_e32 v39, 0x90, v117
	v_lshlrev_b64 v[13:14], 3, v[17:18]
	v_mad_u64_u32 v[41:42], null, s12, v46, 0
	v_add_nc_u32_e32 v57, 0x68, v117
	v_mad_u64_u32 v[35:36], null, s12, v39, 0
	v_add_co_u32 v13, vcc_lo, v53, v13
	v_add_co_ci_u32_e32 v14, vcc_lo, v54, v14, vcc_lo
	v_or_b32_e32 v58, 0xa0, v117
	v_mov_b32_e32 v120, v44
	v_mov_b32_e32 v121, v118
	s_waitcnt vmcnt(5)
	v_mad_u64_u32 v[7:8], null, s13, v45, v[8:9]
	v_mov_b32_e32 v24, v7
	v_mad_u64_u32 v[7:8], null, s12, v29, 0
	v_lshlrev_b64 v[17:18], 3, v[23:24]
	v_mov_b32_e32 v23, v28
	v_mad_u64_u32 v[24:25], null, s13, v29, v[8:9]
	v_add_nc_u32_e32 v29, 0x58, v117
	v_add_co_u32 v17, vcc_lo, v53, v17
	v_add_co_ci_u32_e32 v18, vcc_lo, v54, v18, vcc_lo
	v_mad_u64_u32 v[25:26], null, s13, v30, v[23:24]
	v_mov_b32_e32 v8, v24
	v_mov_b32_e32 v23, v32
	v_lshlrev_b64 v[7:8], 3, v[7:8]
	v_mov_b32_e32 v28, v25
	v_lshlrev_b64 v[24:25], 3, v[27:28]
	v_mad_u64_u32 v[26:27], null, s13, v33, v[23:24]
	v_mad_u64_u32 v[33:34], null, s12, v29, 0
	v_add_co_u32 v27, vcc_lo, v53, v7
	v_add_co_ci_u32_e32 v28, vcc_lo, v54, v8, vcc_lo
	v_add_co_u32 v23, vcc_lo, v53, v24
	v_mov_b32_e32 v7, v34
	v_add_co_ci_u32_e32 v24, vcc_lo, v54, v25, vcc_lo
	v_mov_b32_e32 v32, v26
	v_mad_u64_u32 v[37:38], null, s13, v29, v[7:8]
	s_clause 0x3
	global_load_dwordx2 v[29:30], v[13:14], off
	global_load_dwordx2 v[7:8], v[17:18], off
	global_load_dwordx2 v[27:28], v[27:28], off
	global_load_dwordx2 v[25:26], v[23:24], off
	v_add_nc_u32_e32 v38, 40, v117
	v_mov_b32_e32 v17, v36
	v_lshlrev_b64 v[13:14], 3, v[31:32]
	v_mad_u64_u32 v[23:24], null, s12, v38, 0
	v_mad_u64_u32 v[17:18], null, s13, v39, v[17:18]
	v_mov_b32_e32 v34, v37
	v_or_b32_e32 v37, 0x60, v117
	v_add_co_u32 v13, vcc_lo, v53, v13
	v_mov_b32_e32 v18, v24
	v_lshlrev_b64 v[31:32], 3, v[33:34]
	v_mov_b32_e32 v36, v17
	v_mad_u64_u32 v[33:34], null, s12, v37, 0
	s_waitcnt vmcnt(6)
	v_mad_u64_u32 v[17:18], null, s13, v38, v[18:19]
	v_add_nc_u32_e32 v38, 0x98, v117
	v_lshlrev_b64 v[35:36], 3, v[35:36]
	v_add_co_ci_u32_e32 v14, vcc_lo, v54, v14, vcc_lo
	v_add_co_u32 v31, vcc_lo, v53, v31
	v_mad_u64_u32 v[39:40], null, s12, v38, 0
	v_mov_b32_e32 v24, v17
	v_mov_b32_e32 v17, v34
	v_add_co_ci_u32_e32 v32, vcc_lo, v54, v32, vcc_lo
	v_add_co_u32 v35, vcc_lo, v53, v35
	v_mad_u64_u32 v[17:18], null, s13, v37, v[17:18]
	v_mov_b32_e32 v18, v40
	v_lshlrev_b64 v[23:24], 3, v[23:24]
	v_add_co_ci_u32_e32 v36, vcc_lo, v54, v36, vcc_lo
	v_mad_u64_u32 v[47:48], null, s13, v38, v[18:19]
	v_mov_b32_e32 v34, v17
	v_mov_b32_e32 v17, v42
	v_mad_u64_u32 v[48:49], null, s12, v57, 0
	v_add_co_u32 v23, vcc_lo, v53, v23
	v_mad_u64_u32 v[50:51], null, s13, v46, v[17:18]
	v_add_co_ci_u32_e32 v24, vcc_lo, v54, v24, vcc_lo
	v_mad_u64_u32 v[51:52], null, s12, v58, 0
	s_clause 0x3
	global_load_dwordx2 v[17:18], v[13:14], off
	global_load_dwordx2 v[37:38], v[31:32], off
	;; [unrolled: 1-line block ×4, first 2 shown]
	v_mov_b32_e32 v23, v49
	v_mov_b32_e32 v40, v47
	v_lshlrev_b64 v[31:32], 3, v[33:34]
	v_mov_b32_e32 v42, v50
	v_mad_u64_u32 v[23:24], null, s13, v57, v[23:24]
	v_mov_b32_e32 v24, v52
	v_lshlrev_b64 v[33:34], 3, v[39:40]
	v_add_co_u32 v31, vcc_lo, v53, v31
	v_add_co_ci_u32_e32 v32, vcc_lo, v54, v32, vcc_lo
	v_mov_b32_e32 v49, v23
	v_add_co_u32 v23, vcc_lo, v53, v33
	s_waitcnt vmcnt(4)
	v_mad_u64_u32 v[39:40], null, s13, v58, v[24:25]
	v_lshlrev_b64 v[40:41], 3, v[41:42]
	v_add_co_ci_u32_e32 v24, vcc_lo, v54, v34, vcc_lo
	v_lshlrev_b64 v[33:34], 3, v[48:49]
	v_mov_b32_e32 v52, v39
	v_add_co_u32 v47, vcc_lo, v53, v40
	v_add_co_ci_u32_e32 v48, vcc_lo, v54, v41, vcc_lo
	v_lshlrev_b64 v[39:40], 3, v[51:52]
	v_add_co_u32 v33, vcc_lo, v53, v33
	v_add_co_ci_u32_e32 v34, vcc_lo, v54, v34, vcc_lo
	v_add_co_u32 v49, vcc_lo, v53, v39
	v_add_co_ci_u32_e32 v50, vcc_lo, v54, v40, vcc_lo
	s_clause 0x4
	global_load_dwordx2 v[41:42], v[31:32], off
	global_load_dwordx2 v[39:40], v[23:24], off
	;; [unrolled: 1-line block ×5, first 2 shown]
	v_mov_b32_e32 v47, v45
	v_mov_b32_e32 v48, v46
.LBB0_9:
	s_or_b32 exec_lo, exec_lo, s0
.LBB0_10:
	v_add_f32_e32 v45, v3, v11
	v_add_f32_e32 v44, v11, v9
	v_sub_f32_e32 v46, v12, v10
	v_add_f32_e32 v49, v12, v10
	v_add_f32_e32 v12, v4, v12
	v_sub_f32_e32 v50, v11, v9
	v_add_f32_e32 v11, v45, v9
	v_add_f32_e32 v9, v21, v19
	v_fmac_f32_e32 v3, -0.5, v44
	v_add_f32_e32 v12, v12, v10
	v_add_f32_e32 v10, v1, v21
	v_fmac_f32_e32 v4, -0.5, v49
	v_fmac_f32_e32 v1, -0.5, v9
	v_sub_f32_e32 v9, v22, v20
	v_fmamk_f32 v44, v46, 0xbf5db3d7, v3
	v_fmac_f32_e32 v3, 0x3f5db3d7, v46
	v_add_f32_e32 v46, v22, v20
	v_add_f32_e32 v49, v10, v19
	;; [unrolled: 1-line block ×3, first 2 shown]
	v_sub_f32_e32 v21, v21, v19
	v_fmamk_f32 v19, v9, 0xbf5db3d7, v1
	v_fmac_f32_e32 v1, 0x3f5db3d7, v9
	v_add_f32_e32 v9, v15, v29
	v_fmamk_f32 v45, v50, 0x3f5db3d7, v4
	v_fmac_f32_e32 v4, 0xbf5db3d7, v50
	v_fmac_f32_e32 v2, -0.5, v46
	v_add_f32_e32 v50, v10, v20
	v_add_f32_e32 v10, v5, v15
	v_fmac_f32_e32 v5, -0.5, v9
	v_sub_f32_e32 v9, v16, v30
	v_fmamk_f32 v20, v21, 0x3f5db3d7, v2
	v_fmac_f32_e32 v2, 0xbf5db3d7, v21
	v_add_f32_e32 v22, v16, v30
	v_add_f32_e32 v21, v10, v29
	v_add_f32_e32 v10, v6, v16
	v_sub_f32_e32 v29, v15, v29
	v_fmamk_f32 v15, v9, 0xbf5db3d7, v5
	v_fmac_f32_e32 v5, 0x3f5db3d7, v9
	v_add_f32_e32 v9, v27, v25
	v_fmac_f32_e32 v6, -0.5, v22
	v_add_f32_e32 v22, v10, v30
	v_add_f32_e32 v10, v7, v27
	;; [unrolled: 1-line block ×3, first 2 shown]
	v_fmac_f32_e32 v7, -0.5, v9
	v_sub_f32_e32 v9, v28, v26
	v_fmamk_f32 v16, v29, 0x3f5db3d7, v6
	v_fmac_f32_e32 v6, 0xbf5db3d7, v29
	v_add_f32_e32 v29, v10, v25
	v_add_f32_e32 v10, v8, v28
	v_sub_f32_e32 v27, v27, v25
	v_fmamk_f32 v25, v9, 0xbf5db3d7, v7
	v_fmac_f32_e32 v7, 0x3f5db3d7, v9
	s_waitcnt vmcnt(6)
	v_add_f32_e32 v9, v37, v35
	v_fmac_f32_e32 v8, -0.5, v30
	v_add_f32_e32 v30, v10, v26
	v_add_f32_e32 v10, v17, v37
	;; [unrolled: 1-line block ×3, first 2 shown]
	v_fmac_f32_e32 v17, -0.5, v9
	v_sub_f32_e32 v9, v38, v36
	v_fmamk_f32 v26, v27, 0x3f5db3d7, v8
	v_fmac_f32_e32 v8, 0xbf5db3d7, v27
	v_add_f32_e32 v27, v10, v35
	v_add_f32_e32 v10, v18, v38
	v_sub_f32_e32 v37, v37, v35
	v_fmamk_f32 v35, v9, 0xbf5db3d7, v17
	v_fmac_f32_e32 v17, 0x3f5db3d7, v9
	s_waitcnt vmcnt(3)
	v_add_f32_e32 v9, v41, v39
	v_fmac_f32_e32 v18, -0.5, v28
	v_add_f32_e32 v28, v10, v36
	v_add_f32_e32 v10, v13, v41
	v_add_f32_e32 v38, v42, v40
	v_fmac_f32_e32 v13, -0.5, v9
	v_sub_f32_e32 v9, v42, v40
	v_fmamk_f32 v36, v37, 0x3f5db3d7, v18
	v_fmac_f32_e32 v18, 0xbf5db3d7, v37
	v_add_f32_e32 v37, v10, v39
	v_add_f32_e32 v10, v14, v42
	v_fmac_f32_e32 v14, -0.5, v38
	v_sub_f32_e32 v41, v41, v39
	v_fmamk_f32 v39, v9, 0xbf5db3d7, v13
	v_fmac_f32_e32 v13, 0x3f5db3d7, v9
	s_waitcnt vmcnt(1)
	v_add_f32_e32 v9, v23, v31
	v_mov_b32_e32 v122, 3
	s_waitcnt vmcnt(0)
	v_add_f32_e32 v42, v31, v33
	v_add_f32_e32 v38, v10, v40
	v_fmamk_f32 v40, v41, 0x3f5db3d7, v14
	v_fmac_f32_e32 v14, 0xbf5db3d7, v41
	v_add_f32_e32 v41, v9, v33
	v_add_f32_e32 v9, v32, v34
	v_mul_u32_u24_e32 v46, 0x240, v117
	v_lshlrev_b32_sdwa v10, v122, v43 dst_sel:DWORD dst_unused:UNUSED_PAD src0_sel:DWORD src1_sel:WORD_0
	v_fmac_f32_e32 v23, -0.5, v42
	v_sub_f32_e32 v42, v32, v34
	v_add_f32_e32 v32, v24, v32
	v_fmac_f32_e32 v24, -0.5, v9
	v_sub_f32_e32 v9, v31, v33
	v_add3_u32 v33, 0, v46, v10
	v_mul_i32_i24_e32 v31, 0x240, v120
	v_fmamk_f32 v51, v42, 0xbf5db3d7, v23
	v_fmac_f32_e32 v23, 0x3f5db3d7, v42
	v_fmamk_f32 v52, v9, 0x3f5db3d7, v24
	v_fmac_f32_e32 v24, 0xbf5db3d7, v9
	ds_write2_b64 v33, v[11:12], v[44:45] offset1:24
	v_mul_i32_i24_e32 v9, 0x240, v121
	v_mul_lo_u16 v12, 0x56, v117
	v_add3_u32 v11, 0, v31, v10
	ds_write_b64 v33, v[3:4] offset:384
	v_mul_i32_i24_e32 v4, 0x240, v47
	v_add3_u32 v9, 0, v9, v10
	v_lshrrev_b16 v3, 8, v12
	ds_write2_b64 v11, v[49:50], v[19:20] offset1:24
	ds_write_b64 v11, v[1:2] offset:384
	ds_write2_b64 v9, v[21:22], v[15:16] offset1:24
	ds_write_b64 v9, v[5:6] offset:384
	v_mul_lo_u16 v1, v3, 3
	v_and_b32_e32 v9, 0xff, v121
	v_add_f32_e32 v42, v32, v34
	v_add3_u32 v32, 0, v4, v10
	v_add_nc_u32_e32 v2, 0x4800, v33
	v_sub_nc_u16 v1, v117, v1
	v_mul_lo_u16 v5, 0xab, v9
	v_and_b32_e32 v31, 0xff, v120
	ds_write2_b64 v32, v[29:30], v[25:26] offset1:24
	ds_write_b64 v32, v[7:8] offset:384
	ds_write2_b64 v2, v[27:28], v[35:36] offset1:24
	v_mul_i32_i24_e32 v2, 0x240, v48
	v_add_nc_u32_e32 v6, 0x5800, v33
	v_and_b32_e32 v4, 0xff, v1
	v_lshrrev_b16 v1, 9, v5
	v_mul_lo_u16 v5, 0xab, v31
	v_add3_u32 v7, 0, v2, v10
	ds_write2_b64 v6, v[37:38], v[39:40] offset0:64 offset1:88
	v_mul_u32_u24_e32 v2, 6, v4
	v_mul_lo_u16 v6, v1, 3
	v_lshrrev_b16 v5, 9, v5
	ds_write_b64 v33, v[17:18] offset:18816
	ds_write_b64 v33, v[13:14] offset:23424
	v_lshlrev_b32_e32 v8, 3, v2
	v_sub_nc_u16 v2, v121, v6
	v_mul_lo_u16 v6, v5, 3
	ds_write2_b64 v7, v[41:42], v[51:52] offset1:24
	ds_write_b64 v7, v[23:24] offset:384
	s_waitcnt lgkmcnt(0)
	v_and_b32_e32 v2, 0xff, v2
	v_sub_nc_u16 v6, v120, v6
	s_barrier
	buffer_gl0_inv
	s_clause 0x2
	global_load_dwordx4 v[11:14], v8, s[18:19]
	global_load_dwordx4 v[15:18], v8, s[18:19] offset:32
	global_load_dwordx4 v[19:22], v8, s[18:19] offset:16
	v_and_b32_e32 v6, 0xff, v6
	v_mul_u32_u24_e32 v8, 6, v2
	v_mad_i32_i24 v34, 0xfffffe80, v48, v7
	v_and_b32_e32 v3, 0xffff, v3
	v_and_b32_e32 v5, 0xffff, v5
	v_mul_u32_u24_e32 v23, 6, v6
	v_lshlrev_b32_e32 v8, 3, v8
	v_and_b32_e32 v1, 0xffff, v1
	v_cmp_gt_u32_e64 s0, 0x78, v0
	v_mad_u32_u24 v5, v5, 21, v6
	v_lshlrev_b32_e32 v33, 3, v23
	s_clause 0x5
	global_load_dwordx4 v[23:26], v8, s[18:19] offset:16
	global_load_dwordx4 v[27:30], v33, s[18:19] offset:16
	;; [unrolled: 1-line block ×4, first 2 shown]
	global_load_dwordx4 v[43:46], v8, s[18:19]
	global_load_dwordx4 v[49:52], v33, s[18:19]
	v_mul_u32_u24_e32 v8, 0xc0, v117
	v_mad_i32_i24 v33, 0xfffffe80, v47, v32
	v_mad_u32_u24 v1, v1, 21, v2
	v_mul_u32_u24_e32 v2, 0xc0, v5
	s_mov_b32 s6, 0
	v_add3_u32 v32, 0, v8, v10
	ds_read_b64 v[7:8], v33
	ds_read_b64 v[47:48], v34
	ds_read2st64_b64 v[57:60], v32 offset0:42 offset1:45
	ds_read2st64_b64 v[61:64], v32 offset0:54 offset1:57
	v_mul_i32_i24_e32 v33, 0xc0, v121
	v_mul_i32_i24_e32 v34, 0xc0, v120
	ds_read2st64_b64 v[65:68], v32 offset0:36 offset1:39
	ds_read2st64_b64 v[69:72], v32 offset0:24 offset1:27
	v_mul_u32_u24_e32 v1, 0xc0, v1
	v_add3_u32 v33, 0, v33, v10
	v_add3_u32 v34, 0, v34, v10
	ds_read2st64_b64 v[73:76], v32 offset0:30 offset1:33
	ds_read2st64_b64 v[77:80], v32 offset0:48 offset1:51
	ds_read_b64 v[53:54], v33
	ds_read_b64 v[89:90], v32 offset:30720
	ds_read2st64_b64 v[81:84], v32 offset0:15 offset1:21
	ds_read2st64_b64 v[85:88], v32 offset1:12
	ds_read_b64 v[91:92], v34
	v_add3_u32 v2, 0, v2, v10
	v_add3_u32 v1, 0, v1, v10
	s_waitcnt vmcnt(0) lgkmcnt(0)
	s_barrier
	buffer_gl0_inv
	v_mul_f32_e32 v93, v12, v8
	v_mul_f32_e32 v12, v12, v7
	;; [unrolled: 1-line block ×12, first 2 shown]
	v_fmac_f32_e32 v93, v11, v7
	v_fma_f32 v7, v11, v8, -v12
	v_fmac_f32_e32 v94, v47, v13
	v_fma_f32 v8, v48, v13, -v14
	;; [unrolled: 2-line block ×3, first 2 shown]
	v_fma_f32 v12, v62, v17, -v18
	v_mul_f32_e32 v13, v57, v26
	v_mul_f32_e32 v15, v74, v28
	;; [unrolled: 1-line block ×4, first 2 shown]
	v_fmac_f32_e32 v96, v61, v17
	v_mul_f32_e32 v47, v58, v26
	v_mul_f32_e32 v48, v76, v24
	;; [unrolled: 1-line block ×12, first 2 shown]
	v_fmac_f32_e32 v97, v65, v21
	v_fma_f32 v21, v66, v21, -v22
	v_fmac_f32_e32 v98, v71, v19
	v_fma_f32 v19, v72, v19, -v20
	v_mul_f32_e32 v61, v70, v46
	v_mul_f32_e32 v20, v69, v46
	;; [unrolled: 1-line block ×8, first 2 shown]
	v_fma_f32 v52, v58, v25, -v13
	v_fmac_f32_e32 v15, v73, v27
	v_fma_f32 v13, v74, v27, -v16
	v_fma_f32 v58, v80, v39, -v28
	v_add_f32_e32 v27, v7, v12
	v_add_f32_e32 v28, v8, v11
	v_fmac_f32_e32 v47, v57, v25
	v_fmac_f32_e32 v48, v75, v23
	v_fma_f32 v57, v76, v23, -v14
	v_fmac_f32_e32 v17, v63, v37
	v_fma_f32 v14, v64, v37, -v18
	v_fmac_f32_e32 v24, v77, v35
	v_fma_f32 v16, v78, v35, -v26
	v_fmac_f32_e32 v38, v67, v29
	v_fma_f32 v18, v68, v29, -v30
	v_fmac_f32_e32 v61, v69, v45
	v_fma_f32 v45, v70, v45, -v20
	v_fmac_f32_e32 v46, v81, v43
	v_fma_f32 v43, v82, v43, -v22
	v_fmac_f32_e32 v40, v83, v51
	v_fma_f32 v20, v84, v51, -v42
	v_fmac_f32_e32 v44, v87, v49
	v_fma_f32 v22, v88, v49, -v50
	v_add_f32_e32 v23, v93, v96
	v_add_f32_e32 v25, v94, v95
	;; [unrolled: 1-line block ×4, first 2 shown]
	v_sub_f32_e32 v30, v93, v96
	v_sub_f32_e32 v7, v7, v12
	;; [unrolled: 1-line block ×6, first 2 shown]
	v_add_f32_e32 v35, v28, v27
	v_fmac_f32_e32 v59, v79, v39
	v_fmac_f32_e32 v60, v89, v41
	v_fma_f32 v62, v90, v41, -v36
	v_add_f32_e32 v21, v25, v23
	v_add_f32_e32 v36, v44, v17
	;; [unrolled: 1-line block ×6, first 2 shown]
	v_sub_f32_e32 v50, v25, v23
	v_sub_f32_e32 v51, v28, v27
	;; [unrolled: 1-line block ×3, first 2 shown]
	v_add_f32_e32 v63, v11, v12
	v_sub_f32_e32 v64, v11, v12
	v_sub_f32_e32 v12, v12, v30
	v_add_f32_e32 v65, v19, v8
	v_sub_f32_e32 v66, v19, v8
	v_sub_f32_e32 v67, v8, v7
	;; [unrolled: 1-line block ×8, first 2 shown]
	v_add_f32_e32 v20, v29, v35
	v_add_f32_e32 v49, v13, v18
	v_sub_f32_e32 v25, v26, v25
	v_sub_f32_e32 v11, v30, v11
	;; [unrolled: 1-line block ×5, first 2 shown]
	v_add_f32_e32 v18, v26, v21
	v_add_f32_e32 v21, v37, v36
	;; [unrolled: 1-line block ×4, first 2 shown]
	v_mul_f32_e32 v30, 0x3f08b237, v66
	v_mul_f32_e32 v38, 0x3d64c772, v28
	;; [unrolled: 1-line block ×6, first 2 shown]
	v_sub_f32_e32 v68, v15, v22
	v_add_f32_e32 v8, v20, v86
	v_add_f32_e32 v27, v65, v7
	v_mul_f32_e32 v29, 0x3f08b237, v64
	v_mul_f32_e32 v35, 0x3d64c772, v25
	v_sub_f32_e32 v64, v37, v36
	v_sub_f32_e32 v37, v39, v37
	v_sub_f32_e32 v65, v42, v41
	v_sub_f32_e32 v42, v49, v42
	v_add_f32_e32 v66, v15, v22
	v_sub_f32_e32 v22, v22, v17
	v_add_f32_e32 v69, v13, v16
	v_sub_f32_e32 v70, v13, v16
	v_sub_f32_e32 v16, v16, v14
	v_sub_f32_e32 v36, v36, v39
	v_sub_f32_e32 v41, v41, v49
	v_sub_f32_e32 v71, v17, v15
	v_sub_f32_e32 v72, v14, v13
	v_add_f32_e32 v7, v18, v85
	v_add_f32_e32 v13, v39, v21
	;; [unrolled: 1-line block ×3, first 2 shown]
	v_fma_f32 v24, 0x3f3bfb3b, v51, -v38
	v_fma_f32 v38, 0xbf5ff5aa, v67, -v30
	;; [unrolled: 1-line block ×6, first 2 shown]
	v_fmamk_f32 v30, v19, 0xbeae86e6, v30
	v_fmamk_f32 v19, v25, 0x3d64c772, v63
	v_mul_f32_e32 v63, 0x3f08b237, v68
	v_fmamk_f32 v20, v20, 0xbf955555, v8
	v_fma_f32 v21, 0x3f3bfb3b, v50, -v35
	v_fma_f32 v35, 0xbf5ff5aa, v12, -v29
	v_fmamk_f32 v29, v11, 0xbeae86e6, v29
	v_fmamk_f32 v23, v28, 0x3d64c772, v23
	v_add_f32_e32 v50, v66, v17
	v_add_f32_e32 v51, v69, v14
	v_mul_f32_e32 v66, 0x3f08b237, v70
	v_mul_f32_e32 v14, 0x3d64c772, v37
	;; [unrolled: 1-line block ×7, first 2 shown]
	v_add_f32_e32 v11, v13, v91
	v_add_f32_e32 v12, v15, v92
	v_fmamk_f32 v18, v18, 0xbf955555, v7
	v_fmac_f32_e32 v39, 0xbee1c552, v26
	v_fma_f32 v67, 0xbf5ff5aa, v22, -v63
	v_add_f32_e32 v22, v49, v20
	v_fmac_f32_e32 v35, 0xbee1c552, v26
	v_fmac_f32_e32 v38, 0xbee1c552, v27
	;; [unrolled: 1-line block ×5, first 2 shown]
	v_fma_f32 v26, 0x3f3bfb3b, v64, -v14
	v_fma_f32 v27, 0x3f3bfb3b, v65, -v17
	;; [unrolled: 1-line block ×7, first 2 shown]
	v_fmamk_f32 v36, v37, 0x3d64c772, v36
	v_add_f32_e32 v16, v21, v18
	v_add_f32_e32 v17, v24, v20
	;; [unrolled: 1-line block ×5, first 2 shown]
	v_fmamk_f32 v44, v13, 0xbf955555, v11
	v_fmamk_f32 v49, v15, 0xbf955555, v12
	v_sub_f32_e32 v18, v22, v39
	v_add_f32_e32 v20, v39, v22
	v_fmamk_f32 v39, v42, 0x3d64c772, v41
	v_sub_f32_e32 v13, v16, v38
	v_add_f32_e32 v14, v35, v17
	v_add_f32_e32 v15, v38, v16
	v_sub_f32_e32 v16, v17, v35
	v_add_f32_e32 v17, v40, v21
	v_sub_f32_e32 v19, v21, v40
	;; [unrolled: 2-line block ×3, first 2 shown]
	v_sub_f32_e32 v23, v24, v30
	v_add_f32_e32 v30, v26, v44
	v_add_f32_e32 v35, v27, v49
	v_add_f32_e32 v24, v29, v37
	v_add_f32_e32 v37, v25, v44
	v_add_f32_e32 v38, v28, v49
	v_fmamk_f32 v40, v72, 0xbeae86e6, v66
	v_fmamk_f32 v41, v71, 0xbeae86e6, v63
	v_add_f32_e32 v42, v36, v44
	v_add_f32_e32 v44, v39, v49
	;; [unrolled: 1-line block ×4, first 2 shown]
	v_fmac_f32_e32 v67, 0xbee1c552, v50
	v_fmac_f32_e32 v68, 0xbee1c552, v51
	;; [unrolled: 1-line block ×3, first 2 shown]
	v_add_f32_e32 v64, v43, v62
	v_add_f32_e32 v65, v45, v58
	v_fmac_f32_e32 v40, 0xbee1c552, v51
	v_add_f32_e32 v51, v48, v47
	v_add_f32_e32 v39, v63, v49
	v_fmac_f32_e32 v69, 0xbee1c552, v50
	v_add_f32_e32 v26, v67, v35
	v_sub_f32_e32 v28, v35, v67
	v_add_f32_e32 v66, v57, v52
	v_add_f32_e32 v67, v65, v64
	v_fmac_f32_e32 v41, 0xbee1c552, v50
	v_add_f32_e32 v50, v51, v39
	v_sub_f32_e32 v25, v30, v68
	v_add_f32_e32 v27, v68, v30
	v_add_f32_e32 v29, v70, v37
	v_sub_f32_e32 v30, v38, v69
	v_sub_f32_e32 v35, v37, v70
	v_add_f32_e32 v36, v69, v38
	v_add_f32_e32 v37, v40, v42
	;; [unrolled: 1-line block ×3, first 2 shown]
	v_sub_f32_e32 v38, v44, v41
	v_sub_f32_e32 v39, v42, v40
	v_add_f32_e32 v40, v41, v44
	v_add_f32_e32 v41, v50, v53
	v_sub_f32_e32 v44, v46, v60
	v_sub_f32_e32 v43, v43, v62
	v_sub_f32_e32 v46, v61, v59
	v_sub_f32_e32 v45, v45, v58
	v_sub_f32_e32 v47, v47, v48
	v_sub_f32_e32 v48, v52, v57
	v_sub_f32_e32 v53, v51, v63
	v_sub_f32_e32 v62, v66, v65
	v_add_f32_e32 v42, v67, v54
	v_sub_f32_e32 v52, v63, v49
	v_sub_f32_e32 v54, v65, v64
	;; [unrolled: 1-line block ×4, first 2 shown]
	v_mul_f32_e32 v61, 0x3d64c772, v53
	v_mul_f32_e32 v63, 0x3d64c772, v62
	v_add_f32_e32 v57, v47, v46
	v_sub_f32_e32 v46, v46, v44
	v_add_f32_e32 v59, v48, v45
	v_sub_f32_e32 v45, v45, v43
	v_mul_f32_e32 v65, 0x3f08b237, v60
	v_fmamk_f32 v67, v67, 0xbf955555, v42
	v_fma_f32 v60, 0x3f3bfb3b, v52, -v61
	v_fma_f32 v61, 0x3f3bfb3b, v54, -v63
	v_mul_f32_e32 v70, 0x3f08b237, v58
	v_sub_f32_e32 v49, v49, v51
	v_sub_f32_e32 v51, v64, v66
	v_add_f32_e32 v68, v59, v43
	v_fma_f32 v63, 0xbf5ff5aa, v45, -v65
	v_add_f32_e32 v69, v57, v44
	v_add_f32_e32 v58, v61, v67
	v_fma_f32 v61, 0xbf5ff5aa, v46, -v70
	v_sub_f32_e32 v44, v44, v47
	v_sub_f32_e32 v43, v43, v48
	v_mul_f32_e32 v47, 0x3f4a47b2, v49
	v_mul_f32_e32 v48, 0x3f4a47b2, v51
	;; [unrolled: 1-line block ×4, first 2 shown]
	v_fmamk_f32 v50, v50, 0xbf955555, v41
	v_fma_f32 v49, 0xbf3bfb3b, v52, -v47
	v_fma_f32 v51, 0xbf3bfb3b, v54, -v48
	;; [unrolled: 1-line block ×4, first 2 shown]
	v_add_f32_e32 v57, v60, v50
	v_fmac_f32_e32 v63, 0xbee1c552, v68
	v_fmac_f32_e32 v61, 0xbee1c552, v69
	v_add_f32_e32 v49, v49, v50
	v_add_f32_e32 v51, v51, v67
	v_fmac_f32_e32 v45, 0xbee1c552, v68
	v_fmac_f32_e32 v46, 0xbee1c552, v69
	v_fmamk_f32 v47, v53, 0x3d64c772, v47
	v_fmamk_f32 v43, v43, 0xbeae86e6, v65
	v_sub_f32_e32 v59, v57, v63
	v_add_f32_e32 v60, v61, v58
	v_add_f32_e32 v63, v63, v57
	v_sub_f32_e32 v64, v58, v61
	v_add_f32_e32 v57, v45, v49
	v_sub_f32_e32 v58, v51, v46
	v_sub_f32_e32 v61, v49, v45
	v_fmamk_f32 v45, v62, 0x3d64c772, v48
	v_add_f32_e32 v47, v47, v50
	v_fmac_f32_e32 v43, 0xbee1c552, v68
	v_add_f32_e32 v62, v46, v51
	v_mad_u32_u24 v46, v3, 21, v4
	v_fmamk_f32 v44, v44, 0xbeae86e6, v70
	v_add_f32_e32 v45, v45, v67
	v_add_f32_e32 v3, v43, v47
	v_sub_f32_e32 v65, v47, v43
	v_mul_u32_u24_e32 v43, 0xc0, v46
	v_fmac_f32_e32 v44, 0xbee1c552, v69
                                        ; implicit-def: $vgpr72
                                        ; implicit-def: $vgpr68
                                        ; implicit-def: $vgpr70
	v_add3_u32 v6, 0, v43, v10
	v_sub_f32_e32 v4, v45, v44
	v_add_f32_e32 v66, v44, v45
	v_add_nc_u32_e32 v10, 64, v32
	v_add_nc_u32_e32 v5, 0x800, v6
	ds_write2_b64 v6, v[7:8], v[21:22] offset1:72
	ds_write2_b64 v6, v[17:18], v[13:14] offset0:144 offset1:216
	ds_write2_b64 v5, v[15:16], v[19:20] offset0:32 offset1:104
	v_add_nc_u32_e32 v5, 0x800, v2
	ds_write_b64 v6, v[23:24] offset:3456
	ds_write2_b64 v2, v[11:12], v[37:38] offset1:72
	ds_write2_b64 v2, v[29:30], v[25:26] offset0:144 offset1:216
	v_add_nc_u32_e32 v6, 0x800, v1
	ds_write2_b64 v5, v[27:28], v[35:36] offset0:32 offset1:104
	ds_write_b64 v2, v[39:40] offset:3456
	ds_write2_b64 v1, v[41:42], v[3:4] offset1:72
	ds_write2_b64 v1, v[57:58], v[59:60] offset0:144 offset1:216
	ds_write2_b64 v6, v[63:64], v[61:62] offset0:32 offset1:104
	ds_write_b64 v1, v[65:66] offset:3456
	v_add_nc_u32_e32 v1, 0x1c0, v32
	v_add_nc_u32_e32 v2, 0x180, v32
	s_waitcnt lgkmcnt(0)
	s_barrier
	buffer_gl0_inv
	ds_read2st64_b64 v[27:30], v1 offset0:7 offset1:10
	ds_read2st64_b64 v[23:26], v2 offset0:15 offset1:18
	v_add_nc_u32_e32 v1, 0x140, v32
	v_add_nc_u32_e32 v2, 0x100, v32
	;; [unrolled: 1-line block ×4, first 2 shown]
	ds_read2st64_b64 v[19:22], v1 offset0:23 offset1:26
	ds_read2st64_b64 v[5:8], v2 offset0:31 offset1:34
	ds_read2st64_b64 v[15:18], v3 offset0:39 offset1:42
	ds_read2st64_b64 v[11:14], v4 offset0:47 offset1:50
	ds_read2st64_b64 v[1:4], v10 offset0:55 offset1:58
	ds_read_b64 v[75:76], v32
	ds_read_b64 v[73:74], v34
	s_and_saveexec_b32 s7, s0
	s_cbranch_execz .LBB0_12
; %bb.11:
	ds_read_b64 v[59:60], v32 offset:7104
	ds_read_b64 v[63:64], v32 offset:11136
	;; [unrolled: 1-line block ×6, first 2 shown]
	ds_read_b64 v[57:58], v33
	ds_read_b64 v[69:70], v32 offset:31296
.LBB0_12:
	s_or_b32 exec_lo, exec_lo, s7
	v_mul_lo_u16 v0, 0x87, v31
	v_and_b32_e32 v124, 0xffff, v117
	s_load_dwordx2 s[4:5], s[4:5], 0x8
	v_mul_lo_u16 v9, 0x87, v9
	s_andn2_b32 vcc_lo, exec_lo, s1
	v_lshrrev_b16 v0, 8, v0
	v_add_nc_u32_e32 v125, 21, v124
	v_mul_lo_u32 v77, v55, v124
	v_add_nc_u32_e32 v130, 42, v124
	v_add_nc_u32_e32 v129, 63, v124
	v_sub_nc_u16 v10, v120, v0
	v_mul_lo_u32 v81, v55, v125
	v_add_nc_u32_e32 v128, 0x54, v124
	v_mul_lo_u32 v85, v55, v130
	v_add_nc_u32_e32 v127, 0x69, v124
	v_lshrrev_b16 v10, 1, v10
	v_bfe_u32 v78, v77, 8, 8
	v_mul_lo_u32 v86, v55, v129
	v_mul_lo_u32 v87, v55, v128
	v_bfe_u32 v82, v81, 8, 8
	v_and_b32_e32 v10, 0x7f, v10
	v_lshlrev_b32_sdwa v77, v122, v77 dst_sel:DWORD dst_unused:UNUSED_PAD src0_sel:DWORD src1_sel:BYTE_0
	v_lshlrev_b32_sdwa v81, v122, v81 dst_sel:DWORD dst_unused:UNUSED_PAD src0_sel:DWORD src1_sel:BYTE_0
	v_add_nc_u32_e32 v126, 0x7e, v124
	v_lshl_or_b32 v79, v78, 3, 0x800
	v_add_nc_u16 v0, v10, v0
	v_mul_u32_u24_e32 v10, 7, v124
	v_lshl_or_b32 v83, v82, 3, 0x800
	v_bfe_u32 v88, v85, 8, 8
	v_mul_lo_u32 v89, v55, v127
	v_lshrrev_b16 v0, 4, v0
	v_lshlrev_b32_e32 v93, 3, v10
	v_mul_lo_u32 v94, v55, v126
	v_lshlrev_b32_sdwa v85, v122, v85 dst_sel:DWORD dst_unused:UNUSED_PAD src0_sel:DWORD src1_sel:BYTE_0
	v_bfe_u32 v90, v86, 8, 8
	v_and_b32_e32 v123, 15, v0
	global_load_dwordx4 v[51:54], v93, s[18:19] offset:144
	v_lshl_or_b32 v88, v88, 3, 0x800
	v_bfe_u32 v96, v87, 8, 8
	v_lshlrev_b32_sdwa v91, v122, v86 dst_sel:DWORD dst_unused:UNUSED_PAD src0_sel:DWORD src1_sel:BYTE_0
	v_mul_lo_u16 v0, v123, 21
	v_lshlrev_b32_sdwa v95, v122, v87 dst_sel:DWORD dst_unused:UNUSED_PAD src0_sel:DWORD src1_sel:BYTE_0
	v_lshl_or_b32 v92, v90, 3, 0x800
	v_bfe_u32 v97, v89, 8, 8
	v_lshl_or_b32 v96, v96, 3, 0x800
	v_sub_nc_u16 v0, v120, v0
	v_bfe_u32 v99, v94, 8, 8
	v_lshlrev_b32_sdwa v98, v122, v89 dst_sel:DWORD dst_unused:UNUSED_PAD src0_sel:DWORD src1_sel:BYTE_0
	v_lshl_or_b32 v97, v97, 3, 0x800
	v_lshlrev_b32_sdwa v94, v122, v94 dst_sel:DWORD dst_unused:UNUSED_PAD src0_sel:DWORD src1_sel:BYTE_0
	v_and_b32_e32 v0, 0xff, v0
	v_add_nc_u32_e32 v131, 0x93, v124
	v_lshrrev_b16 v9, 8, v9
	v_mul_u32_u24_e32 v10, 7, v0
	v_mul_lo_u32 v113, v55, v0
	v_add_nc_u32_e32 v134, 0x69, v0
	v_add_nc_u32_e32 v132, 63, v0
	;; [unrolled: 1-line block ×3, first 2 shown]
	v_lshlrev_b32_e32 v10, 3, v10
	v_add_nc_u32_e32 v133, 0x54, v0
	s_clause 0x4
	global_load_dwordx4 v[47:50], v10, s[18:19] offset:144
	global_load_dwordx4 v[43:46], v93, s[18:19] offset:160
	;; [unrolled: 1-line block ×5, first 2 shown]
	s_waitcnt lgkmcnt(0)
	s_clause 0x9
	global_load_dwordx2 v[77:78], v77, s[4:5]
	global_load_dwordx2 v[79:80], v79, s[4:5]
	;; [unrolled: 1-line block ×10, first 2 shown]
	v_lshl_or_b32 v95, v99, 3, 0x800
	s_clause 0x3
	global_load_dwordx2 v[103:104], v98, s[4:5]
	global_load_dwordx2 v[107:108], v97, s[4:5]
	global_load_dwordx2 v[97:98], v94, s[4:5]
	global_load_dwordx2 v[99:100], v95, s[4:5]
	global_load_dwordx2 v[109:110], v93, s[18:19] offset:192
	v_mul_lo_u32 v94, v55, v131
	v_bfe_u32 v114, v113, 8, 8
	v_lshl_or_b32 v115, v114, 3, 0x800
	v_bfe_u32 v93, v94, 8, 8
	v_lshlrev_b32_sdwa v94, v122, v94 dst_sel:DWORD dst_unused:UNUSED_PAD src0_sel:DWORD src1_sel:BYTE_0
	v_lshl_or_b32 v95, v93, 3, 0x800
	s_clause 0x1
	global_load_dwordx2 v[93:94], v94, s[4:5]
	global_load_dwordx2 v[95:96], v95, s[4:5]
	global_load_dwordx2 v[111:112], v10, s[18:19] offset:192
	v_lshlrev_b32_sdwa v10, v122, v113 dst_sel:DWORD dst_unused:UNUSED_PAD src0_sel:DWORD src1_sel:BYTE_0
	s_clause 0x1
	global_load_dwordx2 v[113:114], v10, s[4:5]
	global_load_dwordx2 v[115:116], v115, s[4:5]
	v_sub_nc_u16 v10, v121, v9
	v_lshrrev_b16 v10, 1, v10
	v_and_b32_e32 v10, 0x7f, v10
	v_add_nc_u16 v9, v10, v9
	v_add_nc_u32_e32 v10, 21, v0
	v_lshrrev_b16 v9, 4, v9
	v_and_b32_e32 v9, 15, v9
	v_mul_lo_u16 v9, v9, 21
	v_sub_nc_u16 v9, v121, v9
	v_add_nc_u32_e32 v121, 42, v0
	v_add_nc_u32_e32 v0, 0x93, v0
	v_and_b32_e32 v9, 0xff, v9
	v_mul_lo_u32 v0, v55, v0
	v_mul_u32_u24_e32 v138, 7, v9
	s_waitcnt vmcnt(25)
	v_mul_f32_e32 v137, v54, v24
	v_mul_f32_e32 v54, v54, v23
	;; [unrolled: 1-line block ×4, first 2 shown]
	v_fmac_f32_e32 v137, v53, v23
	v_fma_f32 v23, v53, v24, -v54
	v_fmac_f32_e32 v136, v51, v27
	v_fma_f32 v27, v51, v28, -v52
	v_add_nc_u32_e32 v28, 21, v9
	v_mul_lo_u32 v52, v55, v134
	v_mul_lo_u32 v51, v55, v133
	;; [unrolled: 1-line block ×3, first 2 shown]
	s_waitcnt vmcnt(24)
	v_mul_f32_e32 v24, v48, v29
	v_mul_f32_e32 v53, v48, v30
	;; [unrolled: 1-line block ×3, first 2 shown]
	v_mul_lo_u32 v48, v55, v9
	s_waitcnt vmcnt(23)
	v_mul_f32_e32 v134, v44, v20
	v_fma_f32 v139, v47, v30, -v24
	v_mul_f32_e32 v24, v25, v50
	v_fmac_f32_e32 v53, v47, v29
	v_add_nc_u32_e32 v29, 42, v9
	v_add_nc_u32_e32 v30, 63, v9
	;; [unrolled: 1-line block ×3, first 2 shown]
	v_fmac_f32_e32 v54, v25, v49
	v_fma_f32 v140, v26, v49, -v24
	v_add_nc_u32_e32 v24, 0x69, v9
	v_add_nc_u32_e32 v25, 0x7e, v9
	;; [unrolled: 1-line block ×3, first 2 shown]
	v_mul_lo_u32 v50, v55, v132
	v_mul_lo_u32 v26, v55, v10
	s_waitcnt vmcnt(20)
	v_mul_f32_e32 v147, v14, v34
	v_mul_f32_e32 v34, v13, v34
	v_mul_lo_u32 v141, v55, v9
	v_mul_f32_e32 v9, v44, v19
	v_mul_f32_e32 v44, v46, v6
	;; [unrolled: 1-line block ×3, first 2 shown]
	v_fmac_f32_e32 v134, v43, v19
	v_mul_lo_u32 v49, v55, v121
	v_fma_f32 v43, v43, v20, -v9
	v_fmac_f32_e32 v44, v45, v5
	v_mul_f32_e32 v5, v21, v40
	v_mul_f32_e32 v9, v36, v15
	v_mul_lo_u32 v121, v55, v135
	v_lshlrev_b32_e32 v132, 3, v138
	v_mul_lo_u32 v138, v55, v47
	v_bfe_u32 v47, v48, 8, 8
	v_mul_f32_e32 v142, v22, v40
	v_fmac_f32_e32 v147, v13, v33
	v_fma_f32 v149, v14, v33, -v34
	v_lshlrev_b32_sdwa v33, v122, v50 dst_sel:DWORD dst_unused:UNUSED_PAD src0_sel:DWORD src1_sel:BYTE_0
	v_bfe_u32 v34, v50, 8, 8
	s_waitcnt vmcnt(16)
	v_mul_f32_e32 v50, v82, v84
	v_fma_f32 v144, v22, v39, -v5
	v_fma_f32 v22, v35, v16, -v9
	v_mul_f32_e32 v146, v18, v32
	v_mul_f32_e32 v9, v17, v32
	v_bfe_u32 v14, v26, 8, 8
	v_lshlrev_b32_sdwa v46, v122, v48 dst_sel:DWORD dst_unused:UNUSED_PAD src0_sel:DWORD src1_sel:BYTE_0
	v_fma_f32 v45, v45, v6, -v10
	v_mul_f32_e32 v40, v36, v16
	v_mul_f32_e32 v143, v8, v42
	v_mul_f32_e32 v6, v7, v42
	v_fmac_f32_e32 v142, v21, v39
	v_mul_f32_e32 v21, v38, v12
	v_mul_f32_e32 v10, v38, v11
	v_lshlrev_b32_sdwa v13, v122, v26 dst_sel:DWORD dst_unused:UNUSED_PAD src0_sel:DWORD src1_sel:BYTE_0
	v_mul_f32_e32 v38, v78, v80
	v_mul_f32_e32 v39, v77, v80
	v_bfe_u32 v48, v121, 8, 8
	v_lshl_or_b32 v150, v47, 3, 0x800
	v_fma_f32 v151, v81, v83, -v50
	s_waitcnt vmcnt(14)
	v_mul_f32_e32 v47, v86, v88
	v_mul_f32_e32 v50, v85, v88
	v_fmac_f32_e32 v146, v17, v31
	v_fma_f32 v148, v18, v31, -v9
	v_bfe_u32 v31, v49, 8, 8
	v_lshl_or_b32 v14, v14, 3, 0x800
	v_fmac_f32_e32 v143, v7, v41
	v_fma_f32 v145, v8, v41, -v6
	s_clause 0x1
	global_load_dwordx2 v[19:20], v132, s[18:19] offset:192
	global_load_dwordx4 v[5:8], v132, s[18:19] offset:176
	v_fmac_f32_e32 v40, v35, v15
	v_fmac_f32_e32 v21, v37, v11
	v_fma_f32 v32, v37, v12, -v10
	s_clause 0x1
	global_load_dwordx4 v[9:12], v132, s[18:19] offset:160
	global_load_dwordx4 v[15:18], v132, s[18:19] offset:144
	v_lshlrev_b32_sdwa v26, v122, v49 dst_sel:DWORD dst_unused:UNUSED_PAD src0_sel:DWORD src1_sel:BYTE_0
	v_lshlrev_b32_sdwa v35, v122, v51 dst_sel:DWORD dst_unused:UNUSED_PAD src0_sel:DWORD src1_sel:BYTE_0
	v_bfe_u32 v36, v51, 8, 8
	v_lshlrev_b32_sdwa v37, v122, v52 dst_sel:DWORD dst_unused:UNUSED_PAD src0_sel:DWORD src1_sel:BYTE_0
	v_bfe_u32 v41, v52, 8, 8
	v_lshlrev_b32_sdwa v42, v122, v121 dst_sel:DWORD dst_unused:UNUSED_PAD src0_sel:DWORD src1_sel:BYTE_0
	v_fma_f32 v38, v77, v79, -v38
	v_fmac_f32_e32 v39, v78, v79
	v_mul_f32_e32 v121, v81, v84
	v_lshl_or_b32 v52, v48, 3, 0x800
	s_waitcnt vmcnt(16)
	v_mul_f32_e32 v51, v90, v92
	v_fma_f32 v85, v85, v87, -v47
	v_fmac_f32_e32 v50, v86, v87
	v_mul_f32_e32 v86, v89, v92
	s_clause 0x1
	global_load_dwordx2 v[47:48], v13, s[4:5]
	global_load_dwordx2 v[77:78], v14, s[4:5]
	s_waitcnt vmcnt(16)
	v_mul_f32_e32 v13, v102, v106
	v_lshl_or_b32 v31, v31, 3, 0x800
	v_lshl_or_b32 v34, v34, 3, 0x800
	v_fmac_f32_e32 v121, v82, v83
	v_fma_f32 v14, v89, v91, -v51
	v_fmac_f32_e32 v86, v90, v91
	v_mul_f32_e32 v152, v101, v106
	s_waitcnt vmcnt(12)
	v_mul_f32_e32 v81, v98, v100
	v_fma_f32 v13, v101, v105, -v13
	v_mul_f32_e32 v82, v97, v100
	s_clause 0x3
	global_load_dwordx2 v[79:80], v26, s[4:5]
	global_load_dwordx2 v[87:88], v31, s[4:5]
	;; [unrolled: 1-line block ×4, first 2 shown]
	s_waitcnt vmcnt(15)
	v_mul_f32_e32 v26, v110, v2
	v_mul_f32_e32 v31, v110, v1
	v_sub_f32_e32 v32, v23, v32
	v_sub_f32_e32 v34, v136, v40
	v_mul_f32_e32 v51, v104, v108
	v_fmac_f32_e32 v26, v109, v1
	v_fma_f32 v1, v109, v2, -v31
	v_sub_f32_e32 v31, v76, v45
	v_mul_f32_e32 v153, v103, v108
	v_sub_f32_e32 v2, v75, v44
	v_sub_f32_e32 v26, v134, v26
	;; [unrolled: 1-line block ×5, first 2 shown]
	v_fma_f32 v40, v76, 2.0, -v31
	v_fma_f32 v23, v23, 2.0, -v32
	;; [unrolled: 1-line block ×4, first 2 shown]
	v_lshl_or_b32 v36, v36, 3, 0x800
	v_lshl_or_b32 v41, v41, 3, 0x800
	v_fmac_f32_e32 v152, v102, v105
	v_fma_f32 v154, v103, v107, -v51
	v_fmac_f32_e32 v153, v104, v107
	s_clause 0x3
	global_load_dwordx2 v[102:103], v35, s[4:5]
	global_load_dwordx2 v[104:105], v36, s[4:5]
	global_load_dwordx2 v[106:107], v37, s[4:5]
	global_load_dwordx2 v[132:133], v41, s[4:5]
	v_fma_f32 v37, v75, 2.0, -v2
	v_fma_f32 v41, v137, 2.0, -v21
	;; [unrolled: 1-line block ×4, first 2 shown]
	v_sub_f32_e32 v23, v40, v23
	v_sub_f32_e32 v45, v44, v45
	v_fma_f32 v33, v97, v99, -v81
	v_fmac_f32_e32 v82, v98, v99
	v_sub_f32_e32 v41, v37, v41
	v_sub_f32_e32 v43, v27, v43
	;; [unrolled: 1-line block ×3, first 2 shown]
	v_lshlrev_b32_sdwa v49, v122, v0 dst_sel:DWORD dst_unused:UNUSED_PAD src0_sel:DWORD src1_sel:BYTE_0
	v_bfe_u32 v0, v0, 8, 8
	s_waitcnt vmcnt(17)
	v_mul_f32_e32 v35, v94, v96
	v_mul_f32_e32 v36, v93, v96
	v_add_f32_e32 v32, v2, v32
	v_sub_f32_e32 v21, v31, v21
	v_add_f32_e32 v1, v34, v1
	v_sub_f32_e32 v26, v22, v26
	v_add_f32_e32 v75, v41, v43
	v_mul_f32_e32 v51, v81, v82
	v_lshl_or_b32 v0, v0, 3, 0x800
	v_fma_f32 v35, v93, v95, -v35
	v_fmac_f32_e32 v36, v94, v95
	v_fmamk_f32 v91, v1, 0x3f3504f3, v32
	v_fma_f32 v44, v44, 2.0, -v45
	v_fma_f32 v37, v37, 2.0, -v41
	v_mul_f32_e32 v45, v75, v82
	v_fma_f32 v41, v41, 2.0, -v75
	v_fmac_f32_e32 v51, v75, v33
	s_clause 0x3
	global_load_dwordx2 v[75:76], v42, s[4:5]
	global_load_dwordx2 v[93:94], v52, s[4:5]
	;; [unrolled: 1-line block ×4, first 2 shown]
	v_fma_f32 v0, v22, 2.0, -v26
	v_fmamk_f32 v22, v26, 0x3f3504f3, v21
	v_fmac_f32_e32 v91, 0x3f3504f3, v26
	v_mul_lo_u32 v24, v55, v24
	v_mul_lo_u32 v25, v55, v25
	v_fma_f32 v52, v81, v33, -v45
	v_fmac_f32_e32 v22, 0xbf3504f3, v1
	v_fma_f32 v26, v40, 2.0, -v23
	v_fma_f32 v23, v23, 2.0, -v81
	v_mul_f32_e32 v33, v41, v50
	v_fma_f32 v34, v34, 2.0, -v1
	v_mul_f32_e32 v1, v91, v36
	v_mul_f32_e32 v49, v22, v36
	v_fma_f32 v2, v2, 2.0, -v32
	v_mul_f32_e32 v81, v23, v50
	v_fma_f32 v82, v23, v85, -v33
	v_fma_f32 v50, v22, v35, -v1
	v_fmac_f32_e32 v49, v91, v35
	v_bfe_u32 v33, v24, 8, 8
	v_fma_f32 v32, v32, 2.0, -v91
	v_bfe_u32 v35, v25, 8, 8
	v_lshlrev_b32_sdwa v99, v122, v25 dst_sel:DWORD dst_unused:UNUSED_PAD src0_sel:DWORD src1_sel:BYTE_0
	v_bfe_u32 v25, v141, 8, 8
	v_fma_f32 v31, v31, 2.0, -v21
	v_fma_f32 v21, v21, 2.0, -v22
	v_fmamk_f32 v22, v34, 0xbf3504f3, v2
	v_mul_lo_u32 v29, v55, v29
	v_fma_f32 v27, v27, 2.0, -v43
	v_bfe_u32 v1, v138, 8, 8
	v_lshlrev_b32_sdwa v96, v122, v138 dst_sel:DWORD dst_unused:UNUSED_PAD src0_sel:DWORD src1_sel:BYTE_0
	v_fmac_f32_e32 v22, 0x3f3504f3, v0
	v_fmamk_f32 v0, v0, 0xbf3504f3, v31
	v_lshl_or_b32 v136, v33, 3, 0x800
	v_lshl_or_b32 v138, v25, 3, 0x800
	v_sub_f32_e32 v25, v37, v44
	v_mul_f32_e32 v33, v32, v86
	v_mul_lo_u32 v30, v55, v30
	v_bfe_u32 v84, v28, 8, 8
	v_bfe_u32 v83, v29, 8, 8
	v_fmac_f32_e32 v0, 0xbf3504f3, v34
	v_sub_f32_e32 v27, v26, v27
	v_fma_f32 v34, v37, 2.0, -v25
	v_fma_f32 v92, v21, v14, -v33
	v_mul_f32_e32 v33, v22, v153
	v_lshlrev_b32_sdwa v28, v122, v28 dst_sel:DWORD dst_unused:UNUSED_PAD src0_sel:DWORD src1_sel:BYTE_0
	v_lshlrev_b32_sdwa v29, v122, v29 dst_sel:DWORD dst_unused:UNUSED_PAD src0_sel:DWORD src1_sel:BYTE_0
	v_bfe_u32 v23, v30, 8, 8
	v_lshlrev_b32_sdwa v30, v122, v30 dst_sel:DWORD dst_unused:UNUSED_PAD src0_sel:DWORD src1_sel:BYTE_0
	v_lshlrev_b32_sdwa v24, v122, v24 dst_sel:DWORD dst_unused:UNUSED_PAD src0_sel:DWORD src1_sel:BYTE_0
	;; [unrolled: 1-line block ×3, first 2 shown]
	v_lshl_or_b32 v36, v84, 3, 0x800
	v_lshl_or_b32 v122, v83, 3, 0x800
	v_fma_f32 v26, v26, 2.0, -v27
	v_fma_f32 v141, v31, 2.0, -v0
	v_mul_f32_e32 v83, v0, v153
	v_fma_f32 v84, v0, v154, -v33
	v_mul_f32_e32 v0, v34, v39
	v_fmac_f32_e32 v81, v41, v85
	v_mul_f32_e32 v91, v21, v86
	v_mul_f32_e32 v85, v27, v152
	;; [unrolled: 1-line block ×3, first 2 shown]
	v_fma_f32 v98, v26, v38, -v0
	s_waitcnt vmcnt(20)
	v_mul_f32_e32 v0, v3, v112
	v_fma_f32 v2, v2, 2.0, -v22
	v_mul_f32_e32 v97, v26, v39
	v_mul_f32_e32 v95, v141, v121
	s_clause 0x3
	global_load_dwordx2 v[43:44], v46, s[4:5]
	global_load_dwordx2 v[45:46], v150, s[4:5]
	;; [unrolled: 1-line block ×4, first 2 shown]
	v_mul_f32_e32 v150, v4, v112
	v_fma_f32 v4, v4, v111, -v0
	s_waitcnt vmcnt(22)
	v_mul_f32_e32 v0, v114, v116
	v_lshl_or_b32 v1, v1, 3, 0x800
	v_lshl_or_b32 v137, v35, 3, 0x800
	;; [unrolled: 1-line block ×3, first 2 shown]
	v_fmac_f32_e32 v91, v32, v14
	v_fmac_f32_e32 v85, v25, v13
	v_fma_f32 v86, v27, v13, -v21
	v_fmac_f32_e32 v83, v22, v154
	v_mul_f32_e32 v121, v2, v121
	v_fmac_f32_e32 v97, v34, v38
	v_fmac_f32_e32 v95, v2, v151
	s_clause 0x3
	global_load_dwordx2 v[35:36], v29, s[4:5]
	global_load_dwordx2 v[37:38], v122, s[4:5]
	;; [unrolled: 1-line block ×4, first 2 shown]
	v_fmac_f32_e32 v150, v3, v111
	s_clause 0x3
	global_load_dwordx2 v[27:28], v96, s[4:5]
	global_load_dwordx2 v[29:30], v1, s[4:5]
	;; [unrolled: 1-line block ×4, first 2 shown]
	v_fma_f32 v112, v113, v115, -v0
	s_clause 0x3
	global_load_dwordx2 v[13:14], v99, s[4:5]
	global_load_dwordx2 v[21:22], v137, s[4:5]
	;; [unrolled: 1-line block ×4, first 2 shown]
	v_mul_f32_e32 v111, v113, v116
	v_fma_f32 v96, v141, v151, -v121
	v_sub_f32_e32 v110, v74, v145
	v_sub_f32_e32 v116, v139, v148
	v_sub_f32_e32 v4, v144, v4
	v_fmac_f32_e32 v111, v114, v115
	v_sub_f32_e32 v114, v140, v149
	v_sub_f32_e32 v99, v73, v143
	;; [unrolled: 1-line block ×5, first 2 shown]
	v_fma_f32 v74, v74, 2.0, -v110
	v_fma_f32 v73, v73, 2.0, -v99
	;; [unrolled: 1-line block ×4, first 2 shown]
	v_sub_f32_e32 v113, v110, v113
	v_sub_f32_e32 v54, v73, v54
	v_fma_f32 v73, v73, 2.0, -v54
	s_waitcnt vmcnt(28)
	v_mul_f32_e32 v121, v48, v78
	v_mul_f32_e32 v78, v47, v78
	v_fma_f32 v47, v47, v77, -v121
	v_fmac_f32_e32 v78, v48, v77
	s_waitcnt vmcnt(26)
	v_mul_f32_e32 v136, v80, v88
	v_mul_f32_e32 v48, v79, v88
	s_waitcnt vmcnt(24)
	v_mul_f32_e32 v88, v89, v101
	v_mul_f32_e32 v77, v90, v101
	v_fma_f32 v121, v79, v87, -v136
	v_fmac_f32_e32 v48, v80, v87
	v_fmac_f32_e32 v88, v90, v100
	v_fma_f32 v136, v144, 2.0, -v4
	v_fma_f32 v77, v89, v100, -v77
	v_add_f32_e32 v4, v115, v4
	s_waitcnt vmcnt(22)
	v_mul_f32_e32 v101, v103, v105
	v_mul_f32_e32 v80, v102, v105
	v_fma_f32 v105, v139, 2.0, -v116
	s_waitcnt vmcnt(20)
	v_mul_f32_e32 v79, v107, v133
	v_mul_f32_e32 v89, v106, v133
	v_fma_f32 v133, v142, 2.0, -v122
	v_sub_f32_e32 v122, v116, v122
	v_fmac_f32_e32 v80, v103, v104
	v_fma_f32 v101, v102, v104, -v101
	v_fma_f32 v102, v106, v132, -v79
	v_fma_f32 v79, v110, 2.0, -v113
	v_fmamk_f32 v106, v122, 0x3f3504f3, v113
	v_fmac_f32_e32 v89, v107, v132
	v_fmac_f32_e32 v106, 0xbf3504f3, v4
	v_fma_f32 v113, v113, 2.0, -v106
	s_waitcnt vmcnt(18)
	v_mul_f32_e32 v87, v76, v94
	v_mul_f32_e32 v90, v75, v94
	v_fma_f32 v94, v140, 2.0, -v114
	v_add_f32_e32 v114, v99, v114
	s_waitcnt vmcnt(16)
	v_mul_f32_e32 v100, v108, v135
	v_fma_f32 v103, v75, v93, -v87
	v_fmac_f32_e32 v90, v76, v93
	v_sub_f32_e32 v75, v74, v94
	v_sub_f32_e32 v93, v105, v136
	v_fma_f32 v76, v99, 2.0, -v114
	v_sub_f32_e32 v87, v53, v133
	v_fma_f32 v94, v115, 2.0, -v4
	v_fma_f32 v99, v116, 2.0, -v122
	v_fmamk_f32 v104, v4, 0x3f3504f3, v114
	v_fma_f32 v74, v74, 2.0, -v75
	v_fma_f32 v105, v105, 2.0, -v93
	;; [unrolled: 1-line block ×3, first 2 shown]
	v_fmamk_f32 v107, v94, 0xbf3504f3, v76
	v_fmamk_f32 v110, v99, 0xbf3504f3, v79
	v_add_f32_e32 v115, v54, v93
	v_sub_f32_e32 v116, v75, v87
	v_fmac_f32_e32 v104, 0x3f3504f3, v122
	v_sub_f32_e32 v105, v74, v105
	v_sub_f32_e32 v4, v73, v53
	v_fmac_f32_e32 v107, 0x3f3504f3, v99
	v_fmac_f32_e32 v110, 0xbf3504f3, v94
	v_fma_f32 v54, v54, 2.0, -v115
	v_fma_f32 v94, v75, 2.0, -v116
	;; [unrolled: 1-line block ×3, first 2 shown]
	v_mul_f32_e32 v75, v105, v80
	v_fma_f32 v114, v73, 2.0, -v4
	v_fma_f32 v122, v74, 2.0, -v105
	;; [unrolled: 1-line block ×4, first 2 shown]
	v_mul_f32_e32 v87, v94, v48
	v_mul_f32_e32 v48, v54, v48
	;; [unrolled: 1-line block ×5, first 2 shown]
	v_fmac_f32_e32 v75, v4, v101
	v_mul_f32_e32 v4, v109, v135
	v_fmac_f32_e32 v100, v109, v134
	v_mul_f32_e32 v53, v116, v90
	v_mul_f32_e32 v73, v110, v89
	;; [unrolled: 1-line block ×5, first 2 shown]
	v_fma_f32 v88, v94, v121, -v48
	v_mul_f32_e32 v89, v133, v78
	v_mul_f32_e32 v48, v132, v78
	v_fmac_f32_e32 v87, v54, v121
	v_fmac_f32_e32 v79, v99, v77
	v_fma_f32 v80, v113, v77, -v74
	v_mul_f32_e32 v54, v115, v90
	v_fma_f32 v4, v108, v134, -v4
	v_mul_f32_e32 v77, v106, v100
	v_mul_f32_e32 v78, v104, v100
	v_fmac_f32_e32 v53, v115, v103
	v_fma_f32 v76, v105, v101, -v76
	v_fmac_f32_e32 v73, v107, v102
	v_fma_f32 v74, v110, v102, -v136
	;; [unrolled: 2-line block ×4, first 2 shown]
	v_fma_f32 v54, v116, v103, -v54
	v_fmac_f32_e32 v77, v104, v4
	v_fma_f32 v78, v106, v4, -v78
	s_cbranch_vccnz .LBB0_14
; %bb.13:
	v_mad_u64_u32 v[47:48], null, s8, v119, 0
	v_mad_u64_u32 v[99:100], null, s12, v124, 0
	;; [unrolled: 1-line block ×3, first 2 shown]
	s_lshl_b64 s[4:5], s[2:3], 3
	s_add_u32 s1, s16, s4
	v_mov_b32_e32 v4, v48
	v_mov_b32_e32 v48, v100
	s_addc_u32 s4, s17, s5
	s_and_b32 s6, s0, exec_lo
	v_mad_u64_u32 v[103:104], null, s9, v119, v[4:5]
	v_mov_b32_e32 v4, v102
	v_mad_u64_u32 v[104:105], null, s13, v124, v[48:49]
	v_mad_u64_u32 v[105:106], null, s12, v130, 0
	;; [unrolled: 1-line block ×3, first 2 shown]
	v_mov_b32_e32 v48, v103
	v_mad_u64_u32 v[108:109], null, s12, v129, 0
	v_mov_b32_e32 v100, v104
	v_mov_b32_e32 v4, v106
	v_lshlrev_b64 v[47:48], 3, v[47:48]
	v_mov_b32_e32 v102, v107
	v_lshlrev_b64 v[99:100], 3, v[99:100]
	v_mad_u64_u32 v[103:104], null, s13, v130, v[4:5]
	v_add_co_u32 v47, vcc_lo, s1, v47
	v_mov_b32_e32 v4, v109
	v_add_co_ci_u32_e32 v48, vcc_lo, s4, v48, vcc_lo
	v_lshlrev_b64 v[101:102], 3, v[101:102]
	v_add_co_u32 v99, vcc_lo, v47, v99
	v_mad_u64_u32 v[109:110], null, s13, v129, v[4:5]
	v_add_co_ci_u32_e32 v100, vcc_lo, v48, v100, vcc_lo
	v_mad_u64_u32 v[110:111], null, s12, v128, 0
	v_add_co_u32 v101, vcc_lo, v47, v101
	v_add_co_ci_u32_e32 v102, vcc_lo, v48, v102, vcc_lo
	v_mov_b32_e32 v106, v103
	global_store_dwordx2 v[99:100], v[97:98], off
	global_store_dwordx2 v[101:102], v[95:96], off
	v_mad_u64_u32 v[101:102], null, s12, v127, 0
	v_mov_b32_e32 v4, v111
	v_lshlrev_b64 v[99:100], 3, v[105:106]
	v_lshlrev_b64 v[103:104], 3, v[108:109]
	v_mad_u64_u32 v[105:106], null, s13, v128, v[4:5]
	v_mov_b32_e32 v4, v102
	v_mad_u64_u32 v[106:107], null, s12, v126, 0
	v_add_co_u32 v99, vcc_lo, v47, v99
	v_add_co_ci_u32_e32 v100, vcc_lo, v48, v100, vcc_lo
	v_add_co_u32 v102, vcc_lo, v47, v103
	v_mad_u64_u32 v[108:109], null, s13, v127, v[4:5]
	v_mov_b32_e32 v111, v105
	v_add_co_ci_u32_e32 v103, vcc_lo, v48, v104, vcc_lo
	v_mov_b32_e32 v4, v107
	global_store_dwordx2 v[99:100], v[81:82], off
	global_store_dwordx2 v[102:103], v[91:92], off
	v_lshlrev_b64 v[99:100], 3, v[110:111]
	v_mov_b32_e32 v102, v108
	v_mad_u64_u32 v[103:104], null, s13, v126, v[4:5]
	v_mad_u64_u32 v[104:105], null, s12, v131, 0
	v_and_b32_e32 v4, 0xffff, v123
	v_add_co_u32 v99, vcc_lo, v47, v99
	v_lshlrev_b64 v[101:102], 3, v[101:102]
	v_add_co_ci_u32_e32 v100, vcc_lo, v48, v100, vcc_lo
	v_mov_b32_e32 v107, v103
	v_mad_u32_u24 v112, 0x93, v4, v120
	v_mov_b32_e32 v4, v105
	global_store_dwordx2 v[99:100], v[85:86], off
	v_add_co_u32 v99, vcc_lo, v47, v101
	v_add_co_ci_u32_e32 v100, vcc_lo, v48, v102, vcc_lo
	v_lshlrev_b64 v[101:102], 3, v[106:107]
	v_mad_u64_u32 v[106:107], null, s12, v112, 0
	v_mad_u64_u32 v[108:109], null, s13, v131, v[4:5]
	v_add_nc_u32_e32 v110, 42, v112
	v_add_co_u32 v101, vcc_lo, v47, v101
	v_add_co_ci_u32_e32 v102, vcc_lo, v48, v102, vcc_lo
	v_mov_b32_e32 v4, v107
	v_mov_b32_e32 v105, v108
	v_add_nc_u32_e32 v108, 21, v112
	global_store_dwordx2 v[99:100], v[83:84], off
	global_store_dwordx2 v[101:102], v[51:52], off
	v_mad_u64_u32 v[99:100], null, s13, v112, v[4:5]
	v_mad_u64_u32 v[102:103], null, s12, v108, 0
	v_lshlrev_b64 v[100:101], 3, v[104:105]
	v_mad_u64_u32 v[104:105], null, s12, v110, 0
	v_add_nc_u32_e32 v113, 63, v112
	v_mov_b32_e32 v107, v99
	v_add_co_u32 v99, vcc_lo, v47, v100
	v_mov_b32_e32 v4, v103
	v_add_co_ci_u32_e32 v100, vcc_lo, v48, v101, vcc_lo
	v_mov_b32_e32 v101, v105
	v_lshlrev_b64 v[106:107], 3, v[106:107]
	v_mad_u64_u32 v[108:109], null, s13, v108, v[4:5]
	global_store_dwordx2 v[99:100], v[49:50], off
	v_mad_u64_u32 v[109:110], null, s13, v110, v[101:102]
	v_mad_u64_u32 v[110:111], null, s12, v113, 0
	v_add_co_u32 v105, vcc_lo, v47, v106
	v_add_co_ci_u32_e32 v106, vcc_lo, v48, v107, vcc_lo
	v_mov_b32_e32 v103, v108
	v_mov_b32_e32 v4, v111
	global_store_dwordx2 v[105:106], v[93:94], off
	v_mov_b32_e32 v105, v109
	v_lshlrev_b64 v[99:100], 3, v[102:103]
	v_add_nc_u32_e32 v106, 0x54, v112
	v_mad_u64_u32 v[101:102], null, s13, v113, v[4:5]
	v_lshlrev_b64 v[102:103], 3, v[104:105]
	v_add_co_u32 v99, vcc_lo, v47, v99
	v_mad_u64_u32 v[104:105], null, s12, v106, 0
	v_add_co_ci_u32_e32 v100, vcc_lo, v48, v100, vcc_lo
	v_mov_b32_e32 v111, v101
	v_add_co_u32 v101, vcc_lo, v47, v102
	v_add_co_ci_u32_e32 v102, vcc_lo, v48, v103, vcc_lo
	v_add_nc_u32_e32 v103, 0x69, v112
	v_mov_b32_e32 v4, v105
	global_store_dwordx2 v[99:100], v[89:90], off
	v_lshlrev_b64 v[99:100], 3, v[110:111]
	global_store_dwordx2 v[101:102], v[87:88], off
	v_mad_u64_u32 v[101:102], null, s12, v103, 0
	v_add_nc_u32_e32 v110, 0x7e, v112
	v_mad_u64_u32 v[105:106], null, s13, v106, v[4:5]
	v_add_nc_u32_e32 v111, 0x93, v112
	v_add_co_u32 v99, vcc_lo, v47, v99
	v_mad_u64_u32 v[106:107], null, s12, v110, 0
	v_mov_b32_e32 v4, v102
	v_add_co_ci_u32_e32 v100, vcc_lo, v48, v100, vcc_lo
	v_mad_u64_u32 v[108:109], null, s12, v111, 0
	v_mad_u64_u32 v[102:103], null, s13, v103, v[4:5]
	v_mov_b32_e32 v4, v107
	global_store_dwordx2 v[99:100], v[79:80], off
	v_lshlrev_b64 v[99:100], 3, v[104:105]
	v_mov_b32_e32 v103, v109
	v_mad_u64_u32 v[104:105], null, s13, v110, v[4:5]
	v_lshlrev_b64 v[101:102], 3, v[101:102]
	v_add_co_u32 v99, vcc_lo, v47, v99
	v_add_co_ci_u32_e32 v100, vcc_lo, v48, v100, vcc_lo
	v_mad_u64_u32 v[109:110], null, s13, v111, v[103:104]
	v_mov_b32_e32 v107, v104
	v_add_co_u32 v101, vcc_lo, v47, v101
	v_add_co_ci_u32_e32 v102, vcc_lo, v48, v102, vcc_lo
	global_store_dwordx2 v[99:100], v[75:76], off
	v_lshlrev_b64 v[99:100], 3, v[106:107]
	global_store_dwordx2 v[101:102], v[73:74], off
	v_lshlrev_b64 v[101:102], 3, v[108:109]
	v_add_co_u32 v99, vcc_lo, v47, v99
	v_add_co_ci_u32_e32 v100, vcc_lo, v48, v100, vcc_lo
	v_add_co_u32 v101, vcc_lo, v47, v101
	v_add_co_ci_u32_e32 v102, vcc_lo, v48, v102, vcc_lo
	global_store_dwordx2 v[99:100], v[53:54], off
	global_store_dwordx2 v[101:102], v[77:78], off
	s_cbranch_execz .LBB0_15
	s_branch .LBB0_18
.LBB0_14:
                                        ; implicit-def: $vgpr47_vgpr48
.LBB0_15:
	s_mov_b32 s1, exec_lo
                                        ; implicit-def: $vgpr47_vgpr48
	v_cmpx_gt_u64_e64 s[14:15], v[55:56]
	s_cbranch_execz .LBB0_17
; %bb.16:
	v_mad_u64_u32 v[47:48], null, s8, v119, 0
	v_mad_u64_u32 v[55:56], null, s12, v124, 0
	;; [unrolled: 1-line block ×3, first 2 shown]
	s_lshl_b64 s[2:3], s[2:3], 3
	s_add_u32 s2, s16, s2
	v_mov_b32_e32 v4, v48
	v_mov_b32_e32 v48, v56
	s_addc_u32 s3, s17, s3
	s_and_b32 s0, s0, exec_lo
	v_mad_u64_u32 v[101:102], null, s9, v119, v[4:5]
	v_mov_b32_e32 v4, v100
	v_mad_u64_u32 v[102:103], null, s13, v124, v[48:49]
	v_mad_u64_u32 v[103:104], null, s12, v130, 0
	;; [unrolled: 1-line block ×3, first 2 shown]
	v_mov_b32_e32 v48, v101
	v_mad_u64_u32 v[106:107], null, s12, v129, 0
	v_mov_b32_e32 v56, v102
	v_mov_b32_e32 v4, v104
	v_lshlrev_b64 v[47:48], 3, v[47:48]
	v_mov_b32_e32 v100, v105
	v_lshlrev_b64 v[55:56], 3, v[55:56]
	v_mad_u64_u32 v[101:102], null, s13, v130, v[4:5]
	v_add_co_u32 v47, vcc_lo, s2, v47
	v_add_co_ci_u32_e32 v48, vcc_lo, s3, v48, vcc_lo
	v_lshlrev_b64 v[99:100], 3, v[99:100]
	v_mov_b32_e32 v4, v107
	v_add_co_u32 v55, vcc_lo, v47, v55
	v_add_co_ci_u32_e32 v56, vcc_lo, v48, v56, vcc_lo
	v_add_co_u32 v99, vcc_lo, v47, v99
	v_mad_u64_u32 v[107:108], null, s13, v129, v[4:5]
	v_mad_u64_u32 v[108:109], null, s12, v128, 0
	v_add_co_ci_u32_e32 v100, vcc_lo, v48, v100, vcc_lo
	global_store_dwordx2 v[55:56], v[97:98], off
	global_store_dwordx2 v[99:100], v[95:96], off
	v_mad_u64_u32 v[95:96], null, s12, v127, 0
	v_mov_b32_e32 v104, v101
	v_mov_b32_e32 v4, v109
	v_lshlrev_b64 v[97:98], 3, v[106:107]
	s_andn2_b32 s2, s6, exec_lo
	v_lshlrev_b64 v[55:56], 3, v[103:104]
	v_mad_u64_u32 v[99:100], null, s13, v128, v[4:5]
	v_mov_b32_e32 v4, v96
	v_mad_u64_u32 v[100:101], null, s12, v126, 0
	v_add_co_u32 v55, vcc_lo, v47, v55
	v_mad_u64_u32 v[102:103], null, s13, v127, v[4:5]
	v_add_co_ci_u32_e32 v56, vcc_lo, v48, v56, vcc_lo
	v_add_co_u32 v96, vcc_lo, v47, v97
	v_add_co_ci_u32_e32 v97, vcc_lo, v48, v98, vcc_lo
	v_mov_b32_e32 v109, v99
	global_store_dwordx2 v[55:56], v[81:82], off
	global_store_dwordx2 v[96:97], v[91:92], off
	v_mov_b32_e32 v4, v101
	v_mov_b32_e32 v96, v102
	v_lshlrev_b64 v[55:56], 3, v[108:109]
	s_or_b32 s6, s2, s0
	v_mad_u64_u32 v[81:82], null, s13, v126, v[4:5]
	v_lshlrev_b64 v[91:92], 3, v[95:96]
	v_mad_u64_u32 v[95:96], null, s12, v131, 0
	v_and_b32_e32 v4, 0xffff, v123
	v_add_co_u32 v55, vcc_lo, v47, v55
	v_add_co_ci_u32_e32 v56, vcc_lo, v48, v56, vcc_lo
	v_mov_b32_e32 v101, v81
	v_mad_u32_u24 v97, 0x93, v4, v120
	v_mov_b32_e32 v4, v96
	global_store_dwordx2 v[55:56], v[85:86], off
	v_add_co_u32 v55, vcc_lo, v47, v91
	v_add_co_ci_u32_e32 v56, vcc_lo, v48, v92, vcc_lo
	v_lshlrev_b64 v[81:82], 3, v[100:101]
	v_mad_u64_u32 v[85:86], null, s12, v97, 0
	v_mad_u64_u32 v[91:92], null, s13, v131, v[4:5]
	v_add_nc_u32_e32 v92, 42, v97
	v_add_co_u32 v81, vcc_lo, v47, v81
	v_add_co_ci_u32_e32 v82, vcc_lo, v48, v82, vcc_lo
	v_mov_b32_e32 v4, v86
	v_mov_b32_e32 v96, v91
	v_add_nc_u32_e32 v91, 21, v97
	global_store_dwordx2 v[55:56], v[83:84], off
	global_store_dwordx2 v[81:82], v[51:52], off
	v_mad_u64_u32 v[51:52], null, s13, v97, v[4:5]
	v_mad_u64_u32 v[81:82], null, s12, v91, 0
	;; [unrolled: 1-line block ×3, first 2 shown]
	v_lshlrev_b64 v[55:56], 3, v[95:96]
	v_add_nc_u32_e32 v95, 63, v97
	v_mov_b32_e32 v86, v51
	v_mov_b32_e32 v4, v82
	v_add_co_u32 v51, vcc_lo, v47, v55
	v_mov_b32_e32 v82, v84
	v_add_co_ci_u32_e32 v52, vcc_lo, v48, v56, vcc_lo
	v_lshlrev_b64 v[55:56], 3, v[85:86]
	v_mad_u64_u32 v[84:85], null, s13, v91, v[4:5]
	v_mad_u64_u32 v[85:86], null, s13, v92, v[82:83]
	;; [unrolled: 1-line block ×3, first 2 shown]
	v_add_co_u32 v55, vcc_lo, v47, v55
	v_mov_b32_e32 v82, v84
	v_add_co_ci_u32_e32 v56, vcc_lo, v48, v56, vcc_lo
	v_mov_b32_e32 v84, v85
	v_mov_b32_e32 v4, v92
	global_store_dwordx2 v[51:52], v[49:50], off
	v_lshlrev_b64 v[49:50], 3, v[81:82]
	global_store_dwordx2 v[55:56], v[93:94], off
	v_lshlrev_b64 v[55:56], 3, v[83:84]
	v_mad_u64_u32 v[51:52], null, s13, v95, v[4:5]
	v_add_nc_u32_e32 v81, 0x54, v97
	v_add_co_u32 v49, vcc_lo, v47, v49
	v_add_co_ci_u32_e32 v50, vcc_lo, v48, v50, vcc_lo
	v_add_co_u32 v55, vcc_lo, v47, v55
	v_mov_b32_e32 v92, v51
	v_mad_u64_u32 v[51:52], null, s12, v81, 0
	v_add_co_ci_u32_e32 v56, vcc_lo, v48, v56, vcc_lo
	v_add_nc_u32_e32 v84, 0x69, v97
	global_store_dwordx2 v[49:50], v[89:90], off
	v_lshlrev_b64 v[49:50], 3, v[91:92]
	global_store_dwordx2 v[55:56], v[87:88], off
	v_mov_b32_e32 v4, v52
	v_mad_u64_u32 v[55:56], null, s12, v84, 0
	v_add_nc_u32_e32 v87, 0x7e, v97
	v_add_nc_u32_e32 v88, 0x93, v97
	v_mad_u64_u32 v[81:82], null, s13, v81, v[4:5]
	v_add_co_u32 v49, vcc_lo, v47, v49
	v_mov_b32_e32 v4, v56
	v_mad_u64_u32 v[82:83], null, s12, v87, 0
	v_add_co_ci_u32_e32 v50, vcc_lo, v48, v50, vcc_lo
	v_mad_u64_u32 v[84:85], null, s13, v84, v[4:5]
	v_mad_u64_u32 v[85:86], null, s12, v88, 0
	v_mov_b32_e32 v52, v81
	v_mov_b32_e32 v4, v83
	global_store_dwordx2 v[49:50], v[79:80], off
	v_mov_b32_e32 v56, v84
	v_lshlrev_b64 v[49:50], 3, v[51:52]
	v_mov_b32_e32 v51, v86
	v_mad_u64_u32 v[79:80], null, s13, v87, v[4:5]
	v_lshlrev_b64 v[55:56], 3, v[55:56]
	v_mad_u64_u32 v[51:52], null, s13, v88, v[51:52]
	v_add_co_u32 v49, vcc_lo, v47, v49
	v_add_co_ci_u32_e32 v50, vcc_lo, v48, v50, vcc_lo
	v_mov_b32_e32 v83, v79
	v_add_co_u32 v55, vcc_lo, v47, v55
	v_mov_b32_e32 v86, v51
	global_store_dwordx2 v[49:50], v[75:76], off
	v_lshlrev_b64 v[49:50], 3, v[82:83]
	v_add_co_ci_u32_e32 v56, vcc_lo, v48, v56, vcc_lo
	v_lshlrev_b64 v[51:52], 3, v[85:86]
	v_add_co_u32 v49, vcc_lo, v47, v49
	v_add_co_ci_u32_e32 v50, vcc_lo, v48, v50, vcc_lo
	v_add_co_u32 v51, vcc_lo, v47, v51
	v_add_co_ci_u32_e32 v52, vcc_lo, v48, v52, vcc_lo
	global_store_dwordx2 v[55:56], v[73:74], off
	global_store_dwordx2 v[49:50], v[53:54], off
	;; [unrolled: 1-line block ×3, first 2 shown]
.LBB0_17:
	s_or_b32 exec_lo, exec_lo, s1
.LBB0_18:
	s_and_saveexec_b32 s0, s6
	s_cbranch_execnz .LBB0_20
; %bb.19:
	s_endpgm
.LBB0_20:
	v_mul_f32_e32 v4, v60, v16
	v_mul_f32_e32 v16, v59, v16
	;; [unrolled: 1-line block ×5, first 2 shown]
	v_fmac_f32_e32 v4, v59, v15
	v_fma_f32 v15, v60, v15, -v16
	v_fmac_f32_e32 v49, v63, v17
	v_fma_f32 v16, v64, v17, -v18
	v_mul_f32_e32 v10, v61, v10
	v_mul_f32_e32 v17, v66, v12
	;; [unrolled: 1-line block ×5, first 2 shown]
	v_fmac_f32_e32 v50, v61, v9
	v_fma_f32 v9, v62, v9, -v10
	v_fmac_f32_e32 v17, v65, v11
	v_fma_f32 v10, v66, v11, -v12
	v_fmac_f32_e32 v18, v71, v5
	v_mul_f32_e32 v11, v68, v8
	v_fma_f32 v5, v72, v5, -v6
	v_mul_f32_e32 v6, v67, v8
	v_mul_f32_e32 v12, v69, v20
	v_mul_f32_e32 v8, v70, v20
	v_fmac_f32_e32 v11, v67, v7
	v_sub_f32_e32 v17, v57, v17
	v_fma_f32 v6, v68, v7, -v6
	v_fma_f32 v7, v70, v19, -v12
	v_fmac_f32_e32 v8, v69, v19
	v_sub_f32_e32 v18, v4, v18
	v_sub_f32_e32 v10, v58, v10
	v_sub_f32_e32 v6, v16, v6
	v_sub_f32_e32 v7, v9, v7
	v_sub_f32_e32 v11, v49, v11
	v_sub_f32_e32 v5, v15, v5
	v_sub_f32_e32 v8, v50, v8
	v_fma_f32 v16, v16, 2.0, -v6
	v_add_f32_e32 v6, v17, v6
	v_fma_f32 v9, v9, 2.0, -v7
	v_add_f32_e32 v7, v18, v7
	v_fma_f32 v12, v57, 2.0, -v17
	v_fma_f32 v19, v58, 2.0, -v10
	;; [unrolled: 1-line block ×7, first 2 shown]
	v_sub_f32_e32 v8, v5, v8
	v_fma_f32 v18, v18, 2.0, -v7
	v_sub_f32_e32 v20, v12, v20
	v_sub_f32_e32 v16, v19, v16
	;; [unrolled: 1-line block ×4, first 2 shown]
	v_fma_f32 v5, v5, 2.0, -v8
	v_fmamk_f32 v50, v18, 0xbf3504f3, v17
	v_fma_f32 v12, v12, 2.0, -v20
	v_fma_f32 v19, v19, 2.0, -v16
	v_sub_f32_e32 v11, v10, v11
	v_fma_f32 v4, v4, 2.0, -v49
	v_fma_f32 v15, v15, 2.0, -v9
	v_fmac_f32_e32 v50, 0x3f3504f3, v5
	v_add_f32_e32 v54, v20, v9
	v_fma_f32 v10, v10, 2.0, -v11
	v_sub_f32_e32 v51, v12, v4
	v_sub_f32_e32 v53, v19, v15
	v_fma_f32 v9, v17, 2.0, -v50
	s_waitcnt vmcnt(14)
	v_mul_f32_e32 v17, v43, v46
	v_fmamk_f32 v52, v5, 0xbf3504f3, v10
	v_fma_f32 v5, v12, 2.0, -v51
	v_fma_f32 v12, v19, 2.0, -v53
	v_fmamk_f32 v55, v7, 0x3f3504f3, v6
	v_fmamk_f32 v56, v8, 0x3f3504f3, v11
	v_mul_f32_e32 v4, v44, v46
	v_fmac_f32_e32 v17, v44, v45
	v_fmac_f32_e32 v52, 0xbf3504f3, v18
	;; [unrolled: 1-line block ×4, first 2 shown]
	s_waitcnt vmcnt(12)
	v_mul_f32_e32 v7, v39, v42
	v_fma_f32 v8, v43, v45, -v4
	v_mul_f32_e32 v4, v12, v17
	v_mul_f32_e32 v17, v5, v17
	v_sub_f32_e32 v49, v16, v49
	v_fma_f32 v10, v10, 2.0, -v52
	v_fma_f32 v15, v20, 2.0, -v54
	;; [unrolled: 1-line block ×3, first 2 shown]
	v_mul_f32_e32 v6, v40, v42
	v_fmac_f32_e32 v7, v40, v41
	v_fmac_f32_e32 v4, v5, v8
	s_waitcnt vmcnt(10)
	v_mul_f32_e32 v20, v35, v38
	v_fma_f32 v5, v12, v8, -v17
	s_waitcnt vmcnt(8)
	v_mul_f32_e32 v12, v31, v34
	v_fma_f32 v16, v16, 2.0, -v49
	v_fma_f32 v11, v11, 2.0, -v56
	v_fma_f32 v19, v39, v41, -v6
	v_mul_f32_e32 v6, v10, v7
	v_mul_f32_e32 v8, v36, v38
	v_fmac_f32_e32 v20, v36, v37
	v_mul_f32_e32 v7, v9, v7
	v_mul_f32_e32 v17, v32, v34
	v_fmac_f32_e32 v12, v32, v33
	v_fmac_f32_e32 v6, v9, v19
	v_fma_f32 v9, v35, v37, -v8
	v_mul_f32_e32 v8, v16, v20
	v_fma_f32 v7, v10, v19, -v7
	v_fma_f32 v17, v31, v33, -v17
	v_mul_f32_e32 v10, v11, v12
	v_mul_f32_e32 v19, v15, v20
	s_waitcnt vmcnt(6)
	v_mul_f32_e32 v20, v27, v30
	v_fmac_f32_e32 v8, v15, v9
	v_mul_f32_e32 v15, v28, v30
	v_fmac_f32_e32 v10, v18, v17
	v_mul_f32_e32 v12, v18, v12
	s_waitcnt vmcnt(4)
	v_mul_f32_e32 v18, v24, v26
	v_fmac_f32_e32 v20, v28, v29
	v_fma_f32 v9, v16, v9, -v19
	v_mul_f32_e32 v19, v23, v26
	v_fma_f32 v16, v27, v29, -v15
	v_fma_f32 v27, v23, v25, -v18
	s_waitcnt vmcnt(2)
	v_mul_f32_e32 v18, v14, v22
	v_mul_f32_e32 v15, v53, v20
	v_fma_f32 v11, v11, v17, -v12
	v_mul_f32_e32 v17, v51, v20
	v_fmac_f32_e32 v19, v24, v25
	v_mul_f32_e32 v22, v13, v22
	v_fma_f32 v29, v13, v21, -v18
	v_add_nc_u32_e32 v13, 37, v117
	v_fmac_f32_e32 v15, v51, v16
	v_fma_f32 v16, v53, v16, -v17
	v_mad_u64_u32 v[17:18], null, s12, v118, 0
	v_mul_f32_e32 v12, v52, v19
	v_mul_f32_e32 v28, v50, v19
	v_fmac_f32_e32 v22, v14, v21
	s_waitcnt vmcnt(0)
	v_mul_f32_e32 v14, v0, v3
	v_mul_f32_e32 v3, v1, v3
	v_mad_u64_u32 v[19:20], null, s12, v13, 0
	v_add_nc_u32_e32 v31, 58, v117
	v_fmac_f32_e32 v14, v1, v2
	v_mul_f32_e32 v1, v49, v22
	v_fma_f32 v3, v0, v2, -v3
	v_mov_b32_e32 v0, v18
	v_mul_f32_e32 v30, v54, v22
	v_mov_b32_e32 v2, v20
	v_mul_f32_e32 v21, v56, v14
	v_mul_f32_e32 v14, v55, v14
	v_mad_u64_u32 v[22:23], null, s13, v118, v[0:1]
	v_mad_u64_u32 v[23:24], null, s12, v31, 0
	;; [unrolled: 1-line block ×3, first 2 shown]
	v_fmac_f32_e32 v1, v54, v29
	v_fmac_f32_e32 v21, v55, v3
	v_mov_b32_e32 v18, v22
	v_fma_f32 v22, v56, v3, -v14
	v_mov_b32_e32 v0, v24
	v_add_nc_u32_e32 v14, 0x4f, v117
	v_mov_b32_e32 v20, v25
	v_lshlrev_b64 v[17:18], 3, v[17:18]
	v_fmac_f32_e32 v12, v50, v27
	v_mad_u64_u32 v[24:25], null, s13, v31, v[0:1]
	v_mad_u64_u32 v[25:26], null, s12, v14, 0
	v_lshlrev_b64 v[19:20], 3, v[19:20]
	v_add_co_u32 v17, vcc_lo, v47, v17
	v_add_co_ci_u32_e32 v18, vcc_lo, v48, v18, vcc_lo
	v_lshlrev_b64 v[23:24], 3, v[23:24]
	v_add_co_u32 v19, vcc_lo, v47, v19
	v_mov_b32_e32 v0, v26
	v_add_co_ci_u32_e32 v20, vcc_lo, v48, v20, vcc_lo
	global_store_dwordx2 v[17:18], v[4:5], off
	global_store_dwordx2 v[19:20], v[6:7], off
	v_add_nc_u32_e32 v19, 0x64, v117
	v_mad_u64_u32 v[5:6], null, s13, v14, v[0:1]
	v_add_co_u32 v3, vcc_lo, v47, v23
	v_mad_u64_u32 v[6:7], null, s12, v19, 0
	v_fma_f32 v13, v52, v27, -v28
	v_add_co_ci_u32_e32 v4, vcc_lo, v48, v24, vcc_lo
	v_add_nc_u32_e32 v27, 0x8e, v117
	v_mov_b32_e32 v26, v5
	v_add_nc_u32_e32 v14, 0x79, v117
	global_store_dwordx2 v[3:4], v[8:9], off
	v_mov_b32_e32 v0, v7
	v_mad_u64_u32 v[8:9], null, s12, v27, 0
	v_lshlrev_b64 v[17:18], 3, v[25:26]
	v_add_nc_u32_e32 v25, 0xa3, v117
	v_mad_u64_u32 v[19:20], null, s13, v19, v[0:1]
	v_mad_u64_u32 v[3:4], null, s12, v14, 0
	;; [unrolled: 1-line block ×3, first 2 shown]
	v_mov_b32_e32 v0, v9
	v_add_co_u32 v17, vcc_lo, v47, v17
	v_add_co_ci_u32_e32 v18, vcc_lo, v48, v18, vcc_lo
	v_mov_b32_e32 v7, v19
	v_mad_u64_u32 v[19:20], null, s13, v27, v[0:1]
	v_mov_b32_e32 v0, v24
	v_mad_u64_u32 v[4:5], null, s13, v14, v[4:5]
	global_store_dwordx2 v[17:18], v[10:11], off
	v_lshlrev_b64 v[5:6], 3, v[6:7]
	v_mad_u64_u32 v[10:11], null, s13, v25, v[0:1]
	v_mov_b32_e32 v9, v19
	v_fma_f32 v2, v49, v29, -v30
	v_lshlrev_b64 v[3:4], 3, v[3:4]
	v_add_co_u32 v5, vcc_lo, v47, v5
	v_lshlrev_b64 v[7:8], 3, v[8:9]
	v_mov_b32_e32 v24, v10
	v_add_co_ci_u32_e32 v6, vcc_lo, v48, v6, vcc_lo
	v_add_co_u32 v3, vcc_lo, v47, v3
	v_lshlrev_b64 v[9:10], 3, v[23:24]
	v_add_co_ci_u32_e32 v4, vcc_lo, v48, v4, vcc_lo
	v_add_co_u32 v7, vcc_lo, v47, v7
	v_add_co_ci_u32_e32 v8, vcc_lo, v48, v8, vcc_lo
	v_add_co_u32 v9, vcc_lo, v47, v9
	v_add_co_ci_u32_e32 v10, vcc_lo, v48, v10, vcc_lo
	global_store_dwordx2 v[5:6], v[15:16], off
	global_store_dwordx2 v[3:4], v[12:13], off
	;; [unrolled: 1-line block ×4, first 2 shown]
	s_endpgm
	.section	.rodata,"a",@progbits
	.p2align	6, 0x0
	.amdhsa_kernel fft_rtc_back_len168_factors_3_7_8_wgs_192_tpt_8_dim2_sp_ip_CI_sbcc_twdbase8_2step_dirReg
		.amdhsa_group_segment_fixed_size 0
		.amdhsa_private_segment_fixed_size 0
		.amdhsa_kernarg_size 88
		.amdhsa_user_sgpr_count 6
		.amdhsa_user_sgpr_private_segment_buffer 1
		.amdhsa_user_sgpr_dispatch_ptr 0
		.amdhsa_user_sgpr_queue_ptr 0
		.amdhsa_user_sgpr_kernarg_segment_ptr 1
		.amdhsa_user_sgpr_dispatch_id 0
		.amdhsa_user_sgpr_flat_scratch_init 0
		.amdhsa_user_sgpr_private_segment_size 0
		.amdhsa_wavefront_size32 1
		.amdhsa_uses_dynamic_stack 0
		.amdhsa_system_sgpr_private_segment_wavefront_offset 0
		.amdhsa_system_sgpr_workgroup_id_x 1
		.amdhsa_system_sgpr_workgroup_id_y 0
		.amdhsa_system_sgpr_workgroup_id_z 0
		.amdhsa_system_sgpr_workgroup_info 0
		.amdhsa_system_vgpr_workitem_id 0
		.amdhsa_next_free_vgpr 155
		.amdhsa_next_free_sgpr 23
		.amdhsa_reserve_vcc 1
		.amdhsa_reserve_flat_scratch 0
		.amdhsa_float_round_mode_32 0
		.amdhsa_float_round_mode_16_64 0
		.amdhsa_float_denorm_mode_32 3
		.amdhsa_float_denorm_mode_16_64 3
		.amdhsa_dx10_clamp 1
		.amdhsa_ieee_mode 1
		.amdhsa_fp16_overflow 0
		.amdhsa_workgroup_processor_mode 1
		.amdhsa_memory_ordered 1
		.amdhsa_forward_progress 0
		.amdhsa_shared_vgpr_count 0
		.amdhsa_exception_fp_ieee_invalid_op 0
		.amdhsa_exception_fp_denorm_src 0
		.amdhsa_exception_fp_ieee_div_zero 0
		.amdhsa_exception_fp_ieee_overflow 0
		.amdhsa_exception_fp_ieee_underflow 0
		.amdhsa_exception_fp_ieee_inexact 0
		.amdhsa_exception_int_div_zero 0
	.end_amdhsa_kernel
	.text
.Lfunc_end0:
	.size	fft_rtc_back_len168_factors_3_7_8_wgs_192_tpt_8_dim2_sp_ip_CI_sbcc_twdbase8_2step_dirReg, .Lfunc_end0-fft_rtc_back_len168_factors_3_7_8_wgs_192_tpt_8_dim2_sp_ip_CI_sbcc_twdbase8_2step_dirReg
                                        ; -- End function
	.section	.AMDGPU.csdata,"",@progbits
; Kernel info:
; codeLenInByte = 13400
; NumSgprs: 25
; NumVgprs: 155
; ScratchSize: 0
; MemoryBound: 0
; FloatMode: 240
; IeeeMode: 1
; LDSByteSize: 0 bytes/workgroup (compile time only)
; SGPRBlocks: 3
; VGPRBlocks: 19
; NumSGPRsForWavesPerEU: 25
; NumVGPRsForWavesPerEU: 155
; Occupancy: 6
; WaveLimiterHint : 1
; COMPUTE_PGM_RSRC2:SCRATCH_EN: 0
; COMPUTE_PGM_RSRC2:USER_SGPR: 6
; COMPUTE_PGM_RSRC2:TRAP_HANDLER: 0
; COMPUTE_PGM_RSRC2:TGID_X_EN: 1
; COMPUTE_PGM_RSRC2:TGID_Y_EN: 0
; COMPUTE_PGM_RSRC2:TGID_Z_EN: 0
; COMPUTE_PGM_RSRC2:TIDIG_COMP_CNT: 0
	.text
	.p2alignl 6, 3214868480
	.fill 48, 4, 3214868480
	.type	__hip_cuid_e93a01a2239f1905,@object ; @__hip_cuid_e93a01a2239f1905
	.section	.bss,"aw",@nobits
	.globl	__hip_cuid_e93a01a2239f1905
__hip_cuid_e93a01a2239f1905:
	.byte	0                               ; 0x0
	.size	__hip_cuid_e93a01a2239f1905, 1

	.ident	"AMD clang version 19.0.0git (https://github.com/RadeonOpenCompute/llvm-project roc-6.4.0 25133 c7fe45cf4b819c5991fe208aaa96edf142730f1d)"
	.section	".note.GNU-stack","",@progbits
	.addrsig
	.addrsig_sym __hip_cuid_e93a01a2239f1905
	.amdgpu_metadata
---
amdhsa.kernels:
  - .args:
      - .actual_access:  read_only
        .address_space:  global
        .offset:         0
        .size:           8
        .value_kind:     global_buffer
      - .address_space:  global
        .offset:         8
        .size:           8
        .value_kind:     global_buffer
      - .actual_access:  read_only
        .address_space:  global
        .offset:         16
        .size:           8
        .value_kind:     global_buffer
      - .actual_access:  read_only
        .address_space:  global
        .offset:         24
        .size:           8
        .value_kind:     global_buffer
      - .offset:         32
        .size:           8
        .value_kind:     by_value
      - .actual_access:  read_only
        .address_space:  global
        .offset:         40
        .size:           8
        .value_kind:     global_buffer
      - .actual_access:  read_only
        .address_space:  global
        .offset:         48
        .size:           8
        .value_kind:     global_buffer
      - .offset:         56
        .size:           4
        .value_kind:     by_value
      - .actual_access:  read_only
        .address_space:  global
        .offset:         64
        .size:           8
        .value_kind:     global_buffer
      - .actual_access:  read_only
        .address_space:  global
        .offset:         72
        .size:           8
        .value_kind:     global_buffer
      - .address_space:  global
        .offset:         80
        .size:           8
        .value_kind:     global_buffer
    .group_segment_fixed_size: 0
    .kernarg_segment_align: 8
    .kernarg_segment_size: 88
    .language:       OpenCL C
    .language_version:
      - 2
      - 0
    .max_flat_workgroup_size: 192
    .name:           fft_rtc_back_len168_factors_3_7_8_wgs_192_tpt_8_dim2_sp_ip_CI_sbcc_twdbase8_2step_dirReg
    .private_segment_fixed_size: 0
    .sgpr_count:     25
    .sgpr_spill_count: 0
    .symbol:         fft_rtc_back_len168_factors_3_7_8_wgs_192_tpt_8_dim2_sp_ip_CI_sbcc_twdbase8_2step_dirReg.kd
    .uniform_work_group_size: 1
    .uses_dynamic_stack: false
    .vgpr_count:     155
    .vgpr_spill_count: 0
    .wavefront_size: 32
    .workgroup_processor_mode: 1
amdhsa.target:   amdgcn-amd-amdhsa--gfx1030
amdhsa.version:
  - 1
  - 2
...

	.end_amdgpu_metadata
